;; amdgpu-corpus repo=ROCm/rccl kind=compiled arch=gfx1030 opt=O3
	.amdgcn_target "amdgcn-amd-amdhsa--gfx1030"
	.amdhsa_code_object_version 6
	.text
	.p2align	2                               ; -- Begin function _ZN12_GLOBAL__N_17runRingIj10FuncMinMaxIjE7ProtoLLLi0ELi1ELi0EEEviiP15ncclDevWorkColl
	.type	_ZN12_GLOBAL__N_17runRingIj10FuncMinMaxIjE7ProtoLLLi0ELi1ELi0EEEviiP15ncclDevWorkColl,@function
_ZN12_GLOBAL__N_17runRingIj10FuncMinMaxIjE7ProtoLLLi0ELi1ELi0EEEviiP15ncclDevWorkColl: ; @_ZN12_GLOBAL__N_17runRingIj10FuncMinMaxIjE7ProtoLLLi0ELi1ELi0EEEviiP15ncclDevWorkColl
; %bb.0:
	s_waitcnt vmcnt(0) expcnt(0) lgkmcnt(0)
	buffer_store_dword v40, off, s[0:3], s32 offset:80 ; 4-byte Folded Spill
	buffer_store_dword v41, off, s[0:3], s32 offset:76 ; 4-byte Folded Spill
	;; [unrolled: 1-line block ×20, first 2 shown]
	buffer_store_dword v76, off, s[0:3], s32 ; 4-byte Folded Spill
	s_trap 2
	s_clause 0x2
	flat_load_dword v10, v[2:3]
	flat_load_dwordx4 v[5:8], v[2:3] offset:72
	flat_load_dwordx2 v[20:21], v[2:3] offset:88
	v_mov_b32_e32 v4, v0
                                        ; implicit-def: $vgpr18_vgpr19
                                        ; implicit-def: $vgpr26_vgpr27
	s_waitcnt vmcnt(2) lgkmcnt(2)
	v_not_b32_sdwa v0, v10 dst_sel:DWORD dst_unused:UNUSED_PAD src0_sel:BYTE_0
	ds_read_b32 v9, v0
	ds_read_b64 v[24:25], v0
	v_add_nc_u32_sdwa v11, v10, v0 dst_sel:DWORD dst_unused:UNUSED_PAD src0_sel:BYTE_1 src1_sel:DWORD
	v_ashrrev_i32_e32 v12, 31, v11
	s_waitcnt vmcnt(1) lgkmcnt(3)
	v_mul_lo_u32 v13, v8, v11
	v_mad_u64_u32 v[66:67], null, v7, v11, 0
	v_mul_lo_u32 v11, v7, v12
	v_add3_u32 v67, v67, v11, v13
	s_waitcnt lgkmcnt(1)
	v_readfirstlane_b32 s14, v9
	v_cmp_ne_u32_sdwa s4, v9, v10 src0_sel:DWORD src1_sel:BYTE_0
	s_and_saveexec_b32 s5, s4
	s_xor_b32 s4, exec_lo, s5
	s_cbranch_execz .LBB0_6
; %bb.1:
	v_cmp_ne_u32_sdwa s5, v9, v10 src0_sel:DWORD src1_sel:BYTE_1
                                        ; implicit-def: $vgpr18_vgpr19
                                        ; implicit-def: $vgpr26_vgpr27
	s_and_saveexec_b32 s6, s5
	s_xor_b32 s5, exec_lo, s6
	s_cbranch_execz .LBB0_3
; %bb.2:
	flat_load_dwordx2 v[10:11], v[2:3] offset:96
	v_add_nc_u32_e32 v0, v9, v0
	v_ashrrev_i32_e32 v9, 31, v0
	v_mul_lo_u32 v12, v8, v0
	v_mad_u64_u32 v[26:27], null, v7, v0, v[5:6]
	v_mul_lo_u32 v9, v7, v9
	v_add3_u32 v27, v12, v27, v9
	s_waitcnt vmcnt(0) lgkmcnt(0)
	v_lshrrev_b64 v[18:19], 19, v[10:11]
.LBB0_3:
	s_andn2_saveexec_b32 s5, s5
	s_cbranch_execz .LBB0_5
; %bb.4:
	flat_load_dword v0, v[2:3] offset:100
	v_add_co_u32 v26, vcc_lo, v66, v5
	s_waitcnt vmcnt(1)
	v_mov_b32_e32 v7, v20
	v_add_co_ci_u32_e64 v27, null, v67, v6, vcc_lo
	v_mov_b32_e32 v8, v21
	s_waitcnt vmcnt(0) lgkmcnt(0)
	v_lshrrev_b32_e32 v18, 8, v0
.LBB0_5:
	s_or_b32 exec_lo, exec_lo, s5
.LBB0_6:
	s_andn2_saveexec_b32 s4, s4
	s_cbranch_execz .LBB0_8
; %bb.7:
	flat_load_dwordx2 v[7:8], v[2:3] offset:96
	v_mov_b32_e32 v26, 0
	v_mov_b32_e32 v27, 0
	s_waitcnt vmcnt(0) lgkmcnt(0)
	v_lshlrev_b64 v[18:19], 2, v[7:8]
	v_mov_b32_e32 v8, v6
	v_mov_b32_e32 v7, v5
.LBB0_8:
	s_or_b32 exec_lo, exec_lo, s4
	s_load_dword s4, s[8:9], 0x0
	v_mov_b32_e32 v14, 0
	s_clause 0x2
	flat_load_dwordx2 v[28:29], v[2:3] offset:104
	flat_load_ushort v16, v[2:3] offset:8
	flat_load_dword v15, v[2:3] offset:4
	v_and_b32_e32 v17, 31, v4
	s_waitcnt vmcnt(2) lgkmcnt(0)
	v_mov_b32_e32 v29, 0
	v_mov_b32_e32 v30, 0
	s_mov_b32 s6, 0
	s_cmp_lt_u32 s12, s4
	s_cselect_b32 s4, 12, 18
	s_add_u32 s4, s8, s4
	s_addc_u32 s5, s9, 0
	flat_load_dwordx4 v[9:12], v[2:3] offset:16
	global_load_ushort v0, v14, s[4:5]
	s_trap 2
	v_cmp_eq_u32_e64 s4, 0, v17
	s_waitcnt vmcnt(2)
	v_lshrrev_b64 v[2:3], 31, v[15:16]
	v_and_b32_e32 v2, 3, v2
	v_and_b32_e32 v15, 0xffff, v2
	s_waitcnt vmcnt(0)
	ds_read_b32 v13, v0
	s_waitcnt lgkmcnt(0)
	v_cmp_gt_i32_e32 vcc_lo, 0, v13
	v_readfirstlane_b32 s5, v13
	s_cbranch_vccnz .LBB0_10
; %bb.9:
	s_trap 2
	ds_read_b64 v[2:3], v0
	v_lshlrev_b64 v[13:14], 3, v[13:14]
	s_mov_b32 s6, 1
	s_waitcnt lgkmcnt(0)
	v_add_co_u32 v2, vcc_lo, v2, v13
	v_add_co_ci_u32_e64 v3, null, v3, v14, vcc_lo
	flat_load_dwordx2 v[2:3], v[2:3]
	s_waitcnt vmcnt(0) lgkmcnt(0)
	v_mad_u64_u32 v[2:3], null, 0xa8, v15, v[2:3]
	s_clause 0x1
	flat_load_dwordx2 v[34:35], v[2:3] offset:504
	flat_load_dwordx2 v[36:37], v[2:3] offset:608
	v_add_co_u32 v32, vcc_lo, 0x1f8, v2
	v_add_co_ci_u32_e64 v33, null, 0, v3, vcc_lo
	v_cndmask_b32_e64 v2, 0, v32, s4
	v_cndmask_b32_e64 v3, 0, v33, s4
	s_branch .LBB0_11
.LBB0_10:
	v_mov_b32_e32 v32, 0
	v_mov_b32_e32 v2, 0
	;; [unrolled: 1-line block ×4, first 2 shown]
                                        ; implicit-def: $vgpr36_vgpr37
                                        ; implicit-def: $vgpr34_vgpr35
.LBB0_11:
	s_trap 2
	ds_read_b32 v13, v0
	s_waitcnt lgkmcnt(0)
	v_cmp_gt_i32_e32 vcc_lo, 0, v13
	s_cbranch_vccnz .LBB0_13
; %bb.12:
	s_trap 2
	ds_read_b64 v[22:23], v0
	v_mov_b32_e32 v14, 0
	v_lshlrev_b64 v[13:14], 3, v[13:14]
	s_waitcnt lgkmcnt(0)
	v_add_co_u32 v13, vcc_lo, v22, v13
	v_add_co_ci_u32_e64 v14, null, v23, v14, vcc_lo
	v_cmp_eq_u32_e32 vcc_lo, 0, v17
	flat_load_dwordx2 v[13:14], v[13:14]
	s_waitcnt vmcnt(0) lgkmcnt(0)
	v_mad_u64_u32 v[29:30], null, 0xa8, v15, v[13:14]
	s_clause 0x1
	flat_load_dwordx2 v[38:39], v[29:30]
	flat_load_dwordx2 v[22:23], v[29:30] offset:104
	v_cndmask_b32_e32 v16, 0, v30, vcc_lo
	v_cndmask_b32_e32 v15, 0, v29, vcc_lo
	s_branch .LBB0_14
.LBB0_13:
	v_mov_b32_e32 v15, 0
	v_mov_b32_e32 v16, 0
                                        ; implicit-def: $vgpr22_vgpr23
                                        ; implicit-def: $vgpr38_vgpr39
.LBB0_14:
	v_subrev_nc_u32_e32 v13, 32, v1
	v_cmp_gt_u32_e32 vcc_lo, s6, v17
	v_mov_b32_e32 v50, 0
	v_mov_b32_e32 v51, 0
                                        ; implicit-def: $vgpr48_vgpr49
	v_cmp_ge_i32_e64 s4, v4, v13
	v_mov_b32_e32 v13, 0
	v_mov_b32_e32 v14, 0
	s_and_b32 s16, s4, vcc_lo
	s_and_saveexec_b32 s4, s16
	s_cbranch_execz .LBB0_16
; %bb.15:
	s_clause 0x1
	flat_load_dwordx2 v[50:51], v[2:3] offset:56
	flat_load_dwordx2 v[48:49], v[2:3] offset:104
.LBB0_16:
	s_or_b32 exec_lo, exec_lo, s4
	v_mov_b32_e32 v52, 0
	v_mov_b32_e32 v53, 0
	v_cmp_gt_u32_e64 s4, s6, v4
                                        ; implicit-def: $vgpr54_vgpr55
	s_and_saveexec_b32 s6, s4
	s_cbranch_execz .LBB0_18
; %bb.17:
	flat_load_dwordx2 v[52:53], v[15:16] offset:56
	s_waitcnt vmcnt(0) lgkmcnt(0)
	flat_load_dwordx2 v[54:55], v[52:53] glc dlc
	s_waitcnt vmcnt(0)
	flat_load_dwordx4 v[13:16], v[15:16] offset:96
.LBB0_18:
	s_or_b32 exec_lo, exec_lo, s6
	v_mov_b32_e32 v2, 0
	v_mov_b32_e32 v3, 0
	s_mov_b32 s17, exec_lo
	v_cmpx_ne_u64_e32 0, v[7:8]
	s_cbranch_execnz .LBB0_34
; %bb.19:
	s_or_b32 exec_lo, exec_lo, s17
	s_and_saveexec_b32 s5, s16
	s_cbranch_execnz .LBB0_206
.LBB0_20:
	s_or_b32 exec_lo, exec_lo, s5
	s_and_saveexec_b32 s5, s4
	s_cbranch_execz .LBB0_22
.LBB0_21:
	s_waitcnt vmcnt(0) lgkmcnt(0)
	flat_store_dwordx2 v[29:30], v[15:16] offset:104
.LBB0_22:
	s_or_b32 exec_lo, exec_lo, s5
	s_mov_b32 s4, exec_lo
	v_cmpx_ne_u32_e32 32, v1
	s_cbranch_execz .LBB0_213
; %bb.23:
	v_cmp_ne_u32_sdwa s5, v1, v0 src0_sel:DWORD src1_sel:WORD_0
	s_and_saveexec_b32 s6, s5
	s_xor_b32 s5, exec_lo, s6
	s_cbranch_execz .LBB0_211
; %bb.24:
	v_and_b32_e32 v0, 31, v31
	s_mov_b32 s6, exec_lo
	v_cmpx_eq_u32_e32 0, v0
	s_cbranch_execz .LBB0_210
; %bb.25:
	s_mov_b32 s8, exec_lo
	s_mov_b32 s7, exec_lo
	v_mbcnt_lo_u32_b32 v0, s8, 0
	s_waitcnt vmcnt(0) lgkmcnt(0)
	s_waitcnt_vscnt null, 0x0
	buffer_gl1_inv
	buffer_gl0_inv
	v_cmpx_eq_u32_e32 0, v0
	s_cbranch_execz .LBB0_27
; %bb.26:
	s_bcnt1_i32_b32 s8, s8
	v_mov_b32_e32 v5, 0
	v_mov_b32_e32 v4, s8
	ds_add_u64 v0, v[4:5]
	s_trap 2
.LBB0_27:
	s_or_b32 exec_lo, exec_lo, s7
	s_trap 2
	ds_read_b64 v[4:5], v0
	s_waitcnt lgkmcnt(0)
	buffer_gl0_inv
	v_lshrrev_b32_e32 v0, 5, v1
	s_mov_b32 s7, exec_lo
	v_add_co_u32 v0, vcc_lo, v2, v0
	v_add_co_ci_u32_e64 v1, null, 0, v3, vcc_lo
	v_cmpx_lt_u64_e64 v[4:5], v[0:1]
	s_cbranch_execz .LBB0_209
; %bb.28:
	s_mov_b32 s8, 0
	s_mov_b32 s11, 0
                                        ; implicit-def: $sgpr9
                                        ; implicit-def: $sgpr10
	s_inst_prefetch 0x1
	s_branch .LBB0_30
	.p2align	6
.LBB0_29:                               ;   in Loop: Header=BB0_30 Depth=1
	s_or_b32 exec_lo, exec_lo, s13
	s_and_b32 s12, exec_lo, s14
	s_or_b32 s8, s12, s8
	s_andn2_b32 s9, s9, exec_lo
	s_and_b32 s12, s10, exec_lo
	s_or_b32 s9, s9, s12
	s_andn2_b32 exec_lo, exec_lo, s8
	s_cbranch_execz .LBB0_207
.LBB0_30:                               ; =>This Inner Loop Header: Depth=1
	s_add_i32 s11, s11, 1
	s_cmpk_lg_i32 s11, 0x2710
	s_cselect_b32 s12, -1, 0
	s_and_b32 vcc_lo, exec_lo, s12
	s_cbranch_vccz .LBB0_32
; %bb.31:                               ;   in Loop: Header=BB0_30 Depth=1
	s_mov_b32 s14, -1
	s_or_b32 s10, s10, exec_lo
	s_and_saveexec_b32 s13, s12
	s_cbranch_execz .LBB0_29
	s_branch .LBB0_33
	.p2align	6
.LBB0_32:                               ;   in Loop: Header=BB0_30 Depth=1
	s_trap 2
	ds_read_b64 v[2:3], v0
	s_andn2_b32 s12, s12, exec_lo
	s_mov_b32 s11, 0
	s_waitcnt lgkmcnt(0)
	flat_load_dword v2, v[2:3] glc dlc
	s_waitcnt vmcnt(0) lgkmcnt(0)
	buffer_gl1_inv
	buffer_gl0_inv
	v_cmp_eq_u32_e32 vcc_lo, 0, v2
	s_and_b32 s13, vcc_lo, exec_lo
	s_or_b32 s12, s12, s13
	s_mov_b32 s14, -1
	s_or_b32 s10, s10, exec_lo
	s_and_saveexec_b32 s13, s12
	s_cbranch_execz .LBB0_29
.LBB0_33:                               ;   in Loop: Header=BB0_30 Depth=1
	s_sleep 1
	s_trap 2
	ds_read_b64 v[2:3], v0
	s_waitcnt lgkmcnt(0)
	buffer_gl0_inv
	s_andn2_b32 s10, s10, exec_lo
	v_cmp_ge_u64_e32 vcc_lo, v[2:3], v[0:1]
	s_orn2_b32 s14, vcc_lo, exec_lo
	s_branch .LBB0_29
.LBB0_34:
	s_ashr_i32 s6, s5, 31
	v_mov_b32_e32 v17, 0
	s_lshr_b32 s6, s6, 29
	s_ashr_i32 s15, s14, 31
	s_add_i32 s5, s5, s6
	v_add_co_u32 v2, vcc_lo, v20, v5
	s_lshl_b64 s[6:7], s[14:15], 2
	v_add_co_ci_u32_e64 v3, null, v21, v6, vcc_lo
	v_add_co_u32 v5, vcc_lo, v24, s6
	v_lshlrev_b32_e32 v80, 1, v4
	v_mov_b32_e32 v81, v17
	v_add_co_ci_u32_e64 v6, null, s7, v25, vcc_lo
	v_add_co_u32 v66, vcc_lo, v2, v66
	v_add_co_ci_u32_e64 v67, null, v3, v67, vcc_lo
	v_add_co_u32 v68, vcc_lo, v5, -4
	v_mov_b32_e32 v5, v17
	v_and_b32_e32 v2, 31, v31
	v_lshlrev_b64 v[81:82], 2, v[80:81]
	s_ashr_i32 s8, s5, 3
	v_lshlrev_b64 v[85:86], 2, v[26:27]
	v_lshlrev_b64 v[19:20], 3, v[4:5]
	s_and_b32 s15, s8, -16
	v_cmp_eq_u32_e64 s8, 0, v2
	v_and_b32_e32 v2, 3, v9
	v_mov_b32_e32 v3, v17
	v_add_co_ci_u32_e64 v69, null, -1, v6, vcc_lo
	v_add_co_u32 v116, vcc_lo, v11, v81
	v_add_co_ci_u32_e64 v117, null, v12, v82, vcc_lo
	v_add_co_u32 v118, vcc_lo, v9, v81
	v_add_co_ci_u32_e64 v119, null, v10, v82, vcc_lo
	v_cmp_eq_u64_e64 s10, 0, v[2:3]
	v_add_co_u32 v2, vcc_lo, v19, v85
	v_lshlrev_b64 v[9:10], 4, v[4:5]
	v_add_co_ci_u32_e64 v3, null, v20, v86, vcc_lo
	v_lshlrev_b32_e32 v6, 2, v18
	v_add_co_u32 v40, vcc_lo, v11, v2
	v_mov_b32_e32 v2, v17
	v_add_co_ci_u32_e64 v41, null, v12, v3, vcc_lo
	s_waitcnt vmcnt(1) lgkmcnt(1)
	v_add_co_u32 v43, vcc_lo, v38, v9
	s_ashr_i32 s18, s5, 7
	v_mov_b32_e32 v70, 0
	v_cmp_ne_u64_e64 s5, 0, v[52:53]
	s_waitcnt vmcnt(0) lgkmcnt(0)
	v_cmp_ne_u64_e64 s6, 0, v[13:14]
	v_cmp_ne_u64_e64 s9, 0, v[50:51]
	v_and_b32_e32 v42, 0x1fffff0, v6
	v_lshlrev_b64 v[5:6], 2, v[66:67]
	v_add_co_ci_u32_e64 v44, null, v39, v10, vcc_lo
	v_lshlrev_b64 v[9:10], 3, v[1:2]
	v_lshlrev_b64 v[85:86], 4, v[1:2]
	v_mov_b32_e32 v2, 0
	v_and_b32_e32 v64, 0x7ffffc, v18
	v_mov_b32_e32 v65, v17
	v_mov_b32_e32 v71, 0
	v_cmp_ne_u32_e64 s7, 32, v1
	v_cmp_ne_u32_sdwa s19, v1, v0 src0_sel:DWORD src1_sel:WORD_0
	v_lshrrev_b32_e32 v87, 5, v1
	v_lshlrev_b32_e32 v83, 1, v1
	v_mov_b32_e32 v84, v17
	v_mov_b32_e32 v45, 1
	;; [unrolled: 1-line block ×4, first 2 shown]
	s_cmp_gt_i32 s14, 2
	s_mov_b32 s13, 0
	s_cselect_b32 s21, -1, 0
	s_mov_b32 s20, 0
	s_branch .LBB0_36
.LBB0_35:                               ;   in Loop: Header=BB0_36 Depth=1
	s_or_b32 exec_lo, exec_lo, s11
	v_add_co_u32 v70, vcc_lo, v70, v64
	v_add_co_ci_u32_e64 v71, null, 0, v71, vcc_lo
	v_add_co_u32 v36, vcc_lo, v36, 1
	v_add_co_ci_u32_e64 v37, null, 0, v37, vcc_lo
	v_cmp_ge_u64_e32 vcc_lo, v[70:71], v[7:8]
	v_add_co_u32 v40, s11, v40, v42
	v_add_co_ci_u32_e64 v41, null, 0, v41, s11
	s_or_b32 s20, vcc_lo, s20
	s_andn2_b32 exec_lo, exec_lo, s20
	s_cbranch_execz .LBB0_205
.LBB0_36:                               ; =>This Loop Header: Depth=1
                                        ;     Child Loop BB0_41 Depth 2
                                        ;     Child Loop BB0_60 Depth 2
	;; [unrolled: 1-line block ×5, first 2 shown]
                                        ;       Child Loop BB0_88 Depth 3
                                        ;       Child Loop BB0_107 Depth 3
	;; [unrolled: 1-line block ×3, first 2 shown]
                                        ;         Child Loop BB0_135 Depth 4
                                        ;       Child Loop BB0_149 Depth 3
                                        ;       Child Loop BB0_124 Depth 3
                                        ;     Child Loop BB0_165 Depth 2
                                        ;       Child Loop BB0_171 Depth 3
                                        ;     Child Loop BB0_193 Depth 2
	flat_load_dword v20, v[68:69]
	v_sub_co_u32 v18, vcc_lo, v7, v70
	v_sub_co_ci_u32_e64 v19, null, v8, v71, vcc_lo
	v_cmp_lt_u64_e32 vcc_lo, v[64:65], v[18:19]
	v_cndmask_b32_e32 v21, v18, v64, vcc_lo
	v_lshl_add_u32 v18, v21, 3, 8
	v_and_b32_e32 v47, 0x7fffff0, v18
	s_and_saveexec_b32 s12, s5
	s_cbranch_execz .LBB0_52
; %bb.37:                               ;   in Loop: Header=BB0_36 Depth=1
	v_add_co_u32 v18, vcc_lo, v15, 1
	v_add_co_ci_u32_e64 v19, null, 0, v16, vcc_lo
	v_add_co_u32 v96, vcc_lo, v54, 8
	v_add_co_ci_u32_e64 v97, null, 0, v55, vcc_lo
	s_mov_b32 s22, exec_lo
	v_cmpx_lt_u64_e64 v[96:97], v[18:19]
	s_cbranch_execz .LBB0_49
; %bb.38:                               ;   in Loop: Header=BB0_36 Depth=1
	s_mov_b32 s23, 0
	s_mov_b32 s27, 0
	v_cmp_eq_u32_e32 vcc_lo, 0, v46
                                        ; implicit-def: $sgpr24
                                        ; implicit-def: $sgpr25
                                        ; implicit-def: $sgpr26
	s_branch .LBB0_41
.LBB0_39:                               ;   in Loop: Header=BB0_41 Depth=2
	s_or_b32 exec_lo, exec_lo, s42
	s_andn2_b32 s11, s26, exec_lo
	s_and_b32 s26, s40, exec_lo
	s_andn2_b32 s25, s25, exec_lo
	s_and_b32 s29, s29, exec_lo
	s_or_b32 s26, s11, s26
	s_or_b32 s25, s25, s29
.LBB0_40:                               ;   in Loop: Header=BB0_41 Depth=2
	s_or_b32 exec_lo, exec_lo, s28
	s_and_b32 s11, exec_lo, s25
	s_or_b32 s23, s11, s23
	s_andn2_b32 s11, s24, exec_lo
	s_and_b32 s24, s26, exec_lo
	s_or_b32 s24, s11, s24
	s_andn2_b32 exec_lo, exec_lo, s23
	s_cbranch_execz .LBB0_46
.LBB0_41:                               ;   Parent Loop BB0_36 Depth=1
                                        ; =>  This Inner Loop Header: Depth=2
	s_sleep 1
	s_waitcnt vmcnt(0) lgkmcnt(0)
	flat_load_dwordx2 v[54:55], v[52:53] glc dlc
	v_mov_b32_e32 v46, 1
	s_or_b32 s26, s26, exec_lo
	s_or_b32 s25, s25, exec_lo
                                        ; implicit-def: $vgpr16
	s_and_saveexec_b32 s28, vcc_lo
	s_cbranch_execz .LBB0_40
; %bb.42:                               ;   in Loop: Header=BB0_41 Depth=2
	s_add_i32 s27, s27, 1
	s_mov_b32 s29, -1
	s_cmpk_lg_i32 s27, 0x2710
	s_mov_b32 s40, -1
	s_cselect_b32 s41, -1, 0
	s_cmpk_eq_i32 s27, 0x2710
                                        ; implicit-def: $vgpr16
	s_cbranch_scc1 .LBB0_44
; %bb.43:                               ;   in Loop: Header=BB0_41 Depth=2
	v_mov_b32_e32 v46, 1
	s_and_saveexec_b32 s42, s41
	s_cbranch_execz .LBB0_39
	s_branch .LBB0_45
.LBB0_44:                               ;   in Loop: Header=BB0_41 Depth=2
	s_trap 2
	ds_read_b64 v[96:97], v0
	s_andn2_b32 s27, s41, exec_lo
	s_mov_b32 s40, 0
	s_waitcnt vmcnt(0) lgkmcnt(0)
	s_waitcnt_vscnt null, 0x0
	flat_load_dword v16, v[96:97] glc dlc
	s_waitcnt vmcnt(0) lgkmcnt(0)
	buffer_gl1_inv
	buffer_gl0_inv
	v_cmp_eq_u32_e64 s11, 0, v16
	s_and_b32 s11, s11, exec_lo
	s_or_b32 s41, s27, s11
	s_mov_b32 s27, 0
	v_mov_b32_e32 v46, 1
	s_and_saveexec_b32 s42, s41
	s_cbranch_execz .LBB0_39
.LBB0_45:                               ;   in Loop: Header=BB0_41 Depth=2
	s_waitcnt vmcnt(0) lgkmcnt(0)
	v_add_co_u32 v96, s11, v54, 8
	v_add_co_ci_u32_e64 v97, null, 0, v55, s11
	v_mov_b32_e32 v46, 0
	s_or_b32 s40, s40, exec_lo
	v_cmp_ge_u64_e64 s11, v[96:97], v[18:19]
	s_orn2_b32 s29, s11, exec_lo
	s_branch .LBB0_39
.LBB0_46:                               ;   in Loop: Header=BB0_36 Depth=1
	s_or_b32 exec_lo, exec_lo, s23
	s_xor_b32 s11, s24, -1
	s_and_saveexec_b32 s23, s11
	s_xor_b32 s11, exec_lo, s23
	s_cbranch_execz .LBB0_48
; %bb.47:                               ;   in Loop: Header=BB0_36 Depth=1
	v_mov_b32_e32 v46, 1
	s_waitcnt vmcnt(0) lgkmcnt(0)
	s_waitcnt_vscnt null, 0x0
	ds_write_b32 v0, v16
	s_trap 2
.LBB0_48:                               ;   in Loop: Header=BB0_36 Depth=1
	s_or_b32 exec_lo, exec_lo, s11
.LBB0_49:                               ;   in Loop: Header=BB0_36 Depth=1
	s_or_b32 exec_lo, exec_lo, s22
	s_and_saveexec_b32 s11, s6
	s_cbranch_execz .LBB0_51
; %bb.50:                               ;   in Loop: Header=BB0_36 Depth=1
	v_and_b32_e32 v96, 0x7ffffff8, v15
	v_mov_b32_e32 v97, v17
	v_and_b32_e32 v16, 7, v15
	v_cmp_eq_u64_e32 vcc_lo, 0x7ffffff8, v[96:97]
	v_mad_u64_u32 v[96:97], null, v16, 24, v[13:14]
	v_cndmask_b32_e64 v15, v47, s15, vcc_lo
	v_ashrrev_i32_e32 v16, 31, v15
	flat_store_dwordx2 v[96:97], v[15:16] offset:8
	s_waitcnt_vscnt null, 0x0
.LBB0_51:                               ;   in Loop: Header=BB0_36 Depth=1
	s_or_b32 exec_lo, exec_lo, s11
	v_mov_b32_e32 v15, v18
	v_mov_b32_e32 v16, v19
.LBB0_52:                               ;   in Loop: Header=BB0_36 Depth=1
	s_or_b32 exec_lo, exec_lo, s12
	s_and_saveexec_b32 s11, s7
	s_cbranch_execz .LBB0_71
; %bb.53:                               ;   in Loop: Header=BB0_36 Depth=1
	s_and_saveexec_b32 s12, s19
	s_xor_b32 s12, exec_lo, s12
	s_cbranch_execz .LBB0_68
; %bb.54:                               ;   in Loop: Header=BB0_36 Depth=1
	s_and_saveexec_b32 s22, s8
	s_cbranch_execz .LBB0_67
; %bb.55:                               ;   in Loop: Header=BB0_36 Depth=1
	s_mov_b32 s24, exec_lo
	s_mov_b32 s23, exec_lo
	v_mbcnt_lo_u32_b32 v18, s24, 0
	s_waitcnt vmcnt(0) lgkmcnt(0)
	s_waitcnt_vscnt null, 0x0
	buffer_gl1_inv
	buffer_gl0_inv
	v_cmpx_eq_u32_e32 0, v18
	s_cbranch_execz .LBB0_57
; %bb.56:                               ;   in Loop: Header=BB0_36 Depth=1
	s_bcnt1_i32_b32 s24, s24
	v_mov_b32_e32 v19, v17
	v_mov_b32_e32 v18, s24
	ds_add_u64 v0, v[18:19]
	s_trap 2
.LBB0_57:                               ;   in Loop: Header=BB0_36 Depth=1
	s_or_b32 exec_lo, exec_lo, s23
	s_trap 2
	ds_read_b64 v[18:19], v0
	s_waitcnt lgkmcnt(0)
	buffer_gl0_inv
	v_add_co_u32 v2, vcc_lo, v2, v87
	v_add_co_ci_u32_e64 v3, null, 0, v3, vcc_lo
	s_mov_b32 s23, exec_lo
	v_cmpx_lt_u64_e64 v[18:19], v[2:3]
	s_cbranch_execz .LBB0_66
; %bb.58:                               ;   in Loop: Header=BB0_36 Depth=1
	s_mov_b32 s24, 0
	s_mov_b32 s27, 0
                                        ; implicit-def: $sgpr25
                                        ; implicit-def: $sgpr26
	s_inst_prefetch 0x1
	s_branch .LBB0_60
	.p2align	6
.LBB0_59:                               ;   in Loop: Header=BB0_60 Depth=2
	s_or_b32 exec_lo, exec_lo, s29
	s_and_b32 s28, exec_lo, s40
	s_or_b32 s24, s28, s24
	s_andn2_b32 s25, s25, exec_lo
	s_and_b32 s28, s26, exec_lo
	s_or_b32 s25, s25, s28
	s_andn2_b32 exec_lo, exec_lo, s24
	s_cbranch_execz .LBB0_64
.LBB0_60:                               ;   Parent Loop BB0_36 Depth=1
                                        ; =>  This Inner Loop Header: Depth=2
	s_add_i32 s27, s27, 1
	s_cmpk_lg_i32 s27, 0x2710
	s_cselect_b32 s28, -1, 0
	s_and_b32 vcc_lo, exec_lo, s28
	s_cbranch_vccz .LBB0_62
; %bb.61:                               ;   in Loop: Header=BB0_60 Depth=2
	s_mov_b32 s40, -1
	s_or_b32 s26, s26, exec_lo
	s_and_saveexec_b32 s29, s28
	s_cbranch_execz .LBB0_59
	s_branch .LBB0_63
	.p2align	6
.LBB0_62:                               ;   in Loop: Header=BB0_60 Depth=2
	s_trap 2
	ds_read_b64 v[18:19], v0
	s_andn2_b32 s28, s28, exec_lo
	s_mov_b32 s27, 0
	s_waitcnt lgkmcnt(0)
	flat_load_dword v18, v[18:19] glc dlc
	s_waitcnt vmcnt(0) lgkmcnt(0)
	buffer_gl1_inv
	buffer_gl0_inv
	v_cmp_eq_u32_e32 vcc_lo, 0, v18
	s_and_b32 s29, vcc_lo, exec_lo
	s_or_b32 s28, s28, s29
	s_mov_b32 s40, -1
	s_or_b32 s26, s26, exec_lo
	s_and_saveexec_b32 s29, s28
	s_cbranch_execz .LBB0_59
.LBB0_63:                               ;   in Loop: Header=BB0_60 Depth=2
	s_sleep 1
	s_trap 2
	ds_read_b64 v[18:19], v0
	s_waitcnt lgkmcnt(0)
	buffer_gl0_inv
	s_andn2_b32 s26, s26, exec_lo
	v_cmp_ge_u64_e32 vcc_lo, v[18:19], v[2:3]
	s_orn2_b32 s40, vcc_lo, exec_lo
	s_branch .LBB0_59
.LBB0_64:                               ;   in Loop: Header=BB0_36 Depth=1
	s_inst_prefetch 0x2
	s_or_b32 exec_lo, exec_lo, s24
	s_and_saveexec_b32 s24, s25
	s_xor_b32 s24, exec_lo, s24
	s_cbranch_execz .LBB0_66
; %bb.65:                               ;   in Loop: Header=BB0_36 Depth=1
	ds_write_b32 v0, v45
	s_trap 2
.LBB0_66:                               ;   in Loop: Header=BB0_36 Depth=1
	s_or_b32 exec_lo, exec_lo, s23
	;;#ASMSTART
	s_wakeup
	;;#ASMEND
.LBB0_67:                               ;   in Loop: Header=BB0_36 Depth=1
	s_or_b32 exec_lo, exec_lo, s22
.LBB0_68:                               ;   in Loop: Header=BB0_36 Depth=1
	s_andn2_saveexec_b32 s12, s12
	s_cbranch_execz .LBB0_70
; %bb.69:                               ;   in Loop: Header=BB0_36 Depth=1
	s_waitcnt vmcnt(0) lgkmcnt(0)
	s_waitcnt_vscnt null, 0x0
	buffer_gl1_inv
	buffer_gl0_inv
	s_barrier
.LBB0_70:                               ;   in Loop: Header=BB0_36 Depth=1
	s_or_b32 exec_lo, exec_lo, s12
.LBB0_71:                               ;   in Loop: Header=BB0_36 Depth=1
	s_or_b32 exec_lo, exec_lo, s11
	v_sub_nc_u32_e32 v56, v21, v80
	v_and_b32_e32 v101, 7, v22
	v_add_nc_u32_e32 v19, 1, v22
	v_mov_b32_e32 v96, v4
	v_cmp_lt_i32_e64 s11, 0, v56
	s_and_saveexec_b32 s22, s11
	s_cbranch_execz .LBB0_77
; %bb.72:                               ;   in Loop: Header=BB0_36 Depth=1
	v_mul_lo_u32 v99, v101, s18
	s_waitcnt vmcnt(0) lgkmcnt(0)
	v_ashrrev_i32_e32 v18, 31, v20
	v_mul_lo_u32 v96, v6, v20
	v_mad_u64_u32 v[97:98], null, v5, v20, 0
	v_mov_b32_e32 v102, v56
	v_mul_lo_u32 v18, v5, v18
	s_mov_b32 s23, 0
	v_ashrrev_i32_e32 v100, 31, v99
                                        ; implicit-def: $vgpr103
	v_lshlrev_b64 v[20:21], 4, v[99:100]
	v_add3_u32 v98, v98, v18, v96
	v_mov_b32_e32 v96, v4
	v_add_co_u32 v99, vcc_lo, v43, v20
	v_add_co_ci_u32_e64 v100, null, v44, v21, vcc_lo
	s_inst_prefetch 0x1
	s_branch .LBB0_74
	.p2align	6
.LBB0_73:                               ;   in Loop: Header=BB0_74 Depth=2
	s_or_b32 exec_lo, exec_lo, s12
	s_waitcnt vmcnt(0)
	v_mov_b32_e32 v20, v103
	v_mov_b32_e32 v21, v19
	v_sub_nc_u32_e32 v102, v102, v83
	v_add_co_u32 v97, vcc_lo, v97, v9
	v_add_co_ci_u32_e64 v98, null, v98, v10, vcc_lo
	global_store_dwordx4 v[99:100], v[18:21], off
	v_cmp_gt_i32_e32 vcc_lo, 1, v102
	v_add_co_u32 v99, s12, v99, v85
	v_add_nc_u32_e32 v96, v96, v1
	v_add_co_ci_u32_e64 v100, null, v100, v86, s12
	s_or_b32 s23, vcc_lo, s23
	s_andn2_b32 exec_lo, exec_lo, s23
	s_cbranch_execz .LBB0_76
.LBB0_74:                               ;   Parent Loop BB0_36 Depth=1
                                        ; =>  This Inner Loop Header: Depth=2
	v_add_co_u32 v20, vcc_lo, v40, v97
	v_add_co_ci_u32_e64 v21, null, v41, v98, vcc_lo
	s_mov_b32 s12, exec_lo
	global_load_dword v18, v[20:21], off slc
	v_cmpx_ne_u32_e32 1, v102
	s_cbranch_execz .LBB0_73
; %bb.75:                               ;   in Loop: Header=BB0_74 Depth=2
	global_load_dword v103, v[20:21], off offset:4 slc
	s_branch .LBB0_73
.LBB0_76:                               ;   in Loop: Header=BB0_36 Depth=1
	s_inst_prefetch 0x2
	s_or_b32 exec_lo, exec_lo, s23
.LBB0_77:                               ;   in Loop: Header=BB0_36 Depth=1
	s_or_b32 exec_lo, exec_lo, s22
	s_waitcnt vmcnt(0) lgkmcnt(0)
	v_and_b32_e32 v20, 0x7ffffff8, v22
	v_mov_b32_e32 v21, v17
	v_cmp_gt_i32_e64 s12, s18, v96
	v_cmp_eq_u64_e32 vcc_lo, 0x7ffffff8, v[20:21]
	s_and_b32 s12, vcc_lo, s12
	s_and_saveexec_b32 s22, s12
	s_cbranch_execz .LBB0_80
; %bb.78:                               ;   in Loop: Header=BB0_36 Depth=1
	v_mul_lo_u32 v20, v101, s18
	v_ashrrev_i32_e32 v97, 31, v96
	v_mov_b32_e32 v18, v19
	s_mov_b32 s23, 0
	v_lshlrev_b64 v[97:98], 4, v[96:97]
	v_ashrrev_i32_e32 v21, 31, v20
	v_lshlrev_b64 v[20:21], 4, v[20:21]
	v_add_co_u32 v20, vcc_lo, v97, v20
	v_add_co_ci_u32_e64 v21, null, v98, v21, vcc_lo
	v_add_co_u32 v97, vcc_lo, v38, v20
	v_add_co_ci_u32_e64 v98, null, v39, v21, vcc_lo
.LBB0_79:                               ;   Parent Loop BB0_36 Depth=1
                                        ; =>  This Inner Loop Header: Depth=2
	v_mov_b32_e32 v19, v17
	v_add_nc_u32_e32 v96, v96, v1
	v_mov_b32_e32 v20, v18
	v_cmp_le_i32_e32 vcc_lo, s18, v96
	global_store_dwordx4 v[97:98], v[17:20], off
	v_add_co_u32 v97, s12, v97, v85
	v_add_co_ci_u32_e64 v98, null, v98, v86, s12
	s_or_b32 s23, vcc_lo, s23
	s_andn2_b32 exec_lo, exec_lo, s23
	s_cbranch_execnz .LBB0_79
.LBB0_80:                               ;   in Loop: Header=BB0_36 Depth=1
	s_or_b32 exec_lo, exec_lo, s22
	v_add_co_u32 v18, vcc_lo, v70, v26
	v_add_co_ci_u32_e64 v19, null, v71, v27, vcc_lo
	v_add_co_u32 v98, vcc_lo, v22, 1
	v_add_co_ci_u32_e64 v99, null, 0, v23, vcc_lo
	v_lshlrev_b64 v[96:97], 2, v[18:19]
	s_andn2_b32 vcc_lo, exec_lo, s21
	s_cbranch_vccnz .LBB0_160
; %bb.81:                               ;   in Loop: Header=BB0_36 Depth=1
	v_add_co_u32 v57, vcc_lo, v116, v96
	v_add_co_ci_u32_e64 v58, null, v117, v97, vcc_lo
	v_add_nc_u16 v59, v22, 1
	s_mov_b32 s22, 2
	s_branch .LBB0_83
.LBB0_82:                               ;   in Loop: Header=BB0_83 Depth=2
	s_or_b32 exec_lo, exec_lo, s23
	v_add_co_u32 v36, vcc_lo, v36, 1
	v_add_co_ci_u32_e64 v37, null, 0, v37, vcc_lo
	v_add_co_u32 v98, vcc_lo, v98, 1
	v_add_co_ci_u32_e64 v99, null, 0, v99, vcc_lo
	v_add_nc_u16 v59, v59, 1
	s_add_i32 s22, s22, 1
	s_cmp_eq_u32 s22, s14
	s_cbranch_scc1 .LBB0_160
.LBB0_83:                               ;   Parent Loop BB0_36 Depth=1
                                        ; =>  This Loop Header: Depth=2
                                        ;       Child Loop BB0_88 Depth 3
                                        ;       Child Loop BB0_107 Depth 3
	;; [unrolled: 1-line block ×3, first 2 shown]
                                        ;         Child Loop BB0_135 Depth 4
                                        ;       Child Loop BB0_149 Depth 3
                                        ;       Child Loop BB0_124 Depth 3
	s_sub_i32 s12, s14, s22
	s_lshl_b64 s[24:25], s[12:13], 2
	v_add_co_u32 v18, vcc_lo, v24, s24
	v_add_co_ci_u32_e64 v19, null, s25, v25, vcc_lo
	flat_load_dword v20, v[18:19]
	s_and_saveexec_b32 s23, s5
	s_cbranch_execz .LBB0_99
; %bb.84:                               ;   in Loop: Header=BB0_83 Depth=2
	v_add_co_u32 v18, vcc_lo, v15, 1
	v_add_co_ci_u32_e64 v19, null, 0, v16, vcc_lo
	v_add_co_u32 v21, vcc_lo, v54, 8
	v_add_co_ci_u32_e64 v22, null, 0, v55, vcc_lo
	s_mov_b32 s24, exec_lo
	v_cmpx_lt_u64_e64 v[21:22], v[18:19]
	s_cbranch_execz .LBB0_96
; %bb.85:                               ;   in Loop: Header=BB0_83 Depth=2
	s_mov_b32 s25, 0
	s_mov_b32 s29, 0
	v_cmp_eq_u32_e32 vcc_lo, 0, v46
                                        ; implicit-def: $sgpr26
                                        ; implicit-def: $sgpr27
                                        ; implicit-def: $sgpr28
	s_branch .LBB0_88
.LBB0_86:                               ;   in Loop: Header=BB0_88 Depth=3
	s_or_b32 exec_lo, exec_lo, s44
	s_andn2_b32 s12, s28, exec_lo
	s_and_b32 s28, s42, exec_lo
	s_andn2_b32 s27, s27, exec_lo
	s_and_b32 s41, s41, exec_lo
	s_or_b32 s28, s12, s28
	s_or_b32 s27, s27, s41
.LBB0_87:                               ;   in Loop: Header=BB0_88 Depth=3
	s_or_b32 exec_lo, exec_lo, s40
	s_and_b32 s12, exec_lo, s27
	s_or_b32 s25, s12, s25
	s_andn2_b32 s12, s26, exec_lo
	s_and_b32 s26, s28, exec_lo
	s_or_b32 s26, s12, s26
	s_andn2_b32 exec_lo, exec_lo, s25
	s_cbranch_execz .LBB0_93
.LBB0_88:                               ;   Parent Loop BB0_36 Depth=1
                                        ;     Parent Loop BB0_83 Depth=2
                                        ; =>    This Inner Loop Header: Depth=3
	s_sleep 1
	s_waitcnt vmcnt(0) lgkmcnt(0)
	flat_load_dwordx2 v[54:55], v[52:53] glc dlc
	v_mov_b32_e32 v46, 1
	s_or_b32 s28, s28, exec_lo
	s_or_b32 s27, s27, exec_lo
                                        ; implicit-def: $vgpr16
	s_and_saveexec_b32 s40, vcc_lo
	s_cbranch_execz .LBB0_87
; %bb.89:                               ;   in Loop: Header=BB0_88 Depth=3
	s_add_i32 s29, s29, 1
	s_mov_b32 s41, -1
	s_cmpk_lg_i32 s29, 0x2710
	s_mov_b32 s42, -1
	s_cselect_b32 s43, -1, 0
	s_cmpk_eq_i32 s29, 0x2710
                                        ; implicit-def: $vgpr16
	s_cbranch_scc1 .LBB0_91
; %bb.90:                               ;   in Loop: Header=BB0_88 Depth=3
	v_mov_b32_e32 v46, 1
	s_and_saveexec_b32 s44, s43
	s_cbranch_execz .LBB0_86
	s_branch .LBB0_92
.LBB0_91:                               ;   in Loop: Header=BB0_88 Depth=3
	s_trap 2
	ds_read_b64 v[21:22], v0
	s_andn2_b32 s29, s43, exec_lo
	s_mov_b32 s42, 0
	s_waitcnt vmcnt(0) lgkmcnt(0)
	s_waitcnt_vscnt null, 0x0
	flat_load_dword v16, v[21:22] glc dlc
	s_waitcnt vmcnt(0) lgkmcnt(0)
	buffer_gl1_inv
	buffer_gl0_inv
	v_cmp_eq_u32_e64 s12, 0, v16
	s_and_b32 s12, s12, exec_lo
	s_or_b32 s43, s29, s12
	s_mov_b32 s29, 0
	v_mov_b32_e32 v46, 1
	s_and_saveexec_b32 s44, s43
	s_cbranch_execz .LBB0_86
.LBB0_92:                               ;   in Loop: Header=BB0_88 Depth=3
	s_waitcnt vmcnt(0) lgkmcnt(0)
	v_add_co_u32 v21, s12, v54, 8
	v_add_co_ci_u32_e64 v22, null, 0, v55, s12
	v_mov_b32_e32 v46, 0
	s_or_b32 s42, s42, exec_lo
	v_cmp_ge_u64_e64 s12, v[21:22], v[18:19]
	s_orn2_b32 s41, s12, exec_lo
	s_branch .LBB0_86
.LBB0_93:                               ;   in Loop: Header=BB0_83 Depth=2
	s_or_b32 exec_lo, exec_lo, s25
	s_xor_b32 s12, s26, -1
	s_and_saveexec_b32 s25, s12
	s_xor_b32 s12, exec_lo, s25
	s_cbranch_execz .LBB0_95
; %bb.94:                               ;   in Loop: Header=BB0_83 Depth=2
	v_mov_b32_e32 v46, 1
	s_waitcnt vmcnt(0) lgkmcnt(0)
	s_waitcnt_vscnt null, 0x0
	ds_write_b32 v0, v16
	s_trap 2
.LBB0_95:                               ;   in Loop: Header=BB0_83 Depth=2
	s_or_b32 exec_lo, exec_lo, s12
.LBB0_96:                               ;   in Loop: Header=BB0_83 Depth=2
	s_or_b32 exec_lo, exec_lo, s24
	s_and_saveexec_b32 s12, s6
	s_cbranch_execz .LBB0_98
; %bb.97:                               ;   in Loop: Header=BB0_83 Depth=2
	v_and_b32_e32 v21, 0x7ffffff8, v15
	v_mov_b32_e32 v22, v17
	v_and_b32_e32 v16, 7, v15
	v_cmp_eq_u64_e32 vcc_lo, 0x7ffffff8, v[21:22]
	v_mad_u64_u32 v[21:22], null, v16, 24, v[13:14]
	v_cndmask_b32_e64 v15, v47, s15, vcc_lo
	v_ashrrev_i32_e32 v16, 31, v15
	flat_store_dwordx2 v[21:22], v[15:16] offset:8
	s_waitcnt_vscnt null, 0x0
.LBB0_98:                               ;   in Loop: Header=BB0_83 Depth=2
	s_or_b32 exec_lo, exec_lo, s12
	v_mov_b32_e32 v15, v18
	v_mov_b32_e32 v16, v19
.LBB0_99:                               ;   in Loop: Header=BB0_83 Depth=2
	s_or_b32 exec_lo, exec_lo, s23
	s_and_saveexec_b32 s12, s7
	s_cbranch_execz .LBB0_118
; %bb.100:                              ;   in Loop: Header=BB0_83 Depth=2
	s_and_saveexec_b32 s23, s19
	s_xor_b32 s23, exec_lo, s23
	s_cbranch_execz .LBB0_115
; %bb.101:                              ;   in Loop: Header=BB0_83 Depth=2
	s_and_saveexec_b32 s24, s8
	s_cbranch_execz .LBB0_114
; %bb.102:                              ;   in Loop: Header=BB0_83 Depth=2
	s_mov_b32 s26, exec_lo
	s_mov_b32 s25, exec_lo
	v_mbcnt_lo_u32_b32 v18, s26, 0
	s_waitcnt vmcnt(0) lgkmcnt(0)
	s_waitcnt_vscnt null, 0x0
	buffer_gl1_inv
	buffer_gl0_inv
	v_cmpx_eq_u32_e32 0, v18
	s_cbranch_execz .LBB0_104
; %bb.103:                              ;   in Loop: Header=BB0_83 Depth=2
	s_bcnt1_i32_b32 s26, s26
	v_mov_b32_e32 v19, v17
	v_mov_b32_e32 v18, s26
	ds_add_u64 v0, v[18:19]
	s_trap 2
.LBB0_104:                              ;   in Loop: Header=BB0_83 Depth=2
	s_or_b32 exec_lo, exec_lo, s25
	s_trap 2
	ds_read_b64 v[18:19], v0
	s_waitcnt lgkmcnt(0)
	buffer_gl0_inv
	v_add_co_u32 v2, vcc_lo, v2, v87
	v_add_co_ci_u32_e64 v3, null, 0, v3, vcc_lo
	s_mov_b32 s25, exec_lo
	v_cmpx_lt_u64_e64 v[18:19], v[2:3]
	s_cbranch_execz .LBB0_113
; %bb.105:                              ;   in Loop: Header=BB0_83 Depth=2
	s_mov_b32 s26, 0
	s_mov_b32 s29, 0
                                        ; implicit-def: $sgpr27
                                        ; implicit-def: $sgpr28
	s_inst_prefetch 0x1
	s_branch .LBB0_107
	.p2align	6
.LBB0_106:                              ;   in Loop: Header=BB0_107 Depth=3
	s_or_b32 exec_lo, exec_lo, s41
	s_and_b32 s40, exec_lo, s42
	s_or_b32 s26, s40, s26
	s_andn2_b32 s27, s27, exec_lo
	s_and_b32 s40, s28, exec_lo
	s_or_b32 s27, s27, s40
	s_andn2_b32 exec_lo, exec_lo, s26
	s_cbranch_execz .LBB0_111
.LBB0_107:                              ;   Parent Loop BB0_36 Depth=1
                                        ;     Parent Loop BB0_83 Depth=2
                                        ; =>    This Inner Loop Header: Depth=3
	s_add_i32 s29, s29, 1
	s_cmpk_lg_i32 s29, 0x2710
	s_cselect_b32 s40, -1, 0
	s_and_b32 vcc_lo, exec_lo, s40
	s_cbranch_vccz .LBB0_109
; %bb.108:                              ;   in Loop: Header=BB0_107 Depth=3
	s_mov_b32 s42, -1
	s_or_b32 s28, s28, exec_lo
	s_and_saveexec_b32 s41, s40
	s_cbranch_execz .LBB0_106
	s_branch .LBB0_110
	.p2align	6
.LBB0_109:                              ;   in Loop: Header=BB0_107 Depth=3
	s_trap 2
	ds_read_b64 v[18:19], v0
	s_andn2_b32 s40, s40, exec_lo
	s_mov_b32 s29, 0
	s_waitcnt lgkmcnt(0)
	flat_load_dword v18, v[18:19] glc dlc
	s_waitcnt vmcnt(0) lgkmcnt(0)
	buffer_gl1_inv
	buffer_gl0_inv
	v_cmp_eq_u32_e32 vcc_lo, 0, v18
	s_and_b32 s41, vcc_lo, exec_lo
	s_or_b32 s40, s40, s41
	s_mov_b32 s42, -1
	s_or_b32 s28, s28, exec_lo
	s_and_saveexec_b32 s41, s40
	s_cbranch_execz .LBB0_106
.LBB0_110:                              ;   in Loop: Header=BB0_107 Depth=3
	s_sleep 1
	s_trap 2
	ds_read_b64 v[18:19], v0
	s_waitcnt lgkmcnt(0)
	buffer_gl0_inv
	s_andn2_b32 s28, s28, exec_lo
	v_cmp_ge_u64_e32 vcc_lo, v[18:19], v[2:3]
	s_orn2_b32 s42, vcc_lo, exec_lo
	s_branch .LBB0_106
.LBB0_111:                              ;   in Loop: Header=BB0_83 Depth=2
	s_inst_prefetch 0x2
	s_or_b32 exec_lo, exec_lo, s26
	s_and_saveexec_b32 s26, s27
	s_xor_b32 s26, exec_lo, s26
	s_cbranch_execz .LBB0_113
; %bb.112:                              ;   in Loop: Header=BB0_83 Depth=2
	ds_write_b32 v0, v45
	s_trap 2
.LBB0_113:                              ;   in Loop: Header=BB0_83 Depth=2
	s_or_b32 exec_lo, exec_lo, s25
	;;#ASMSTART
	s_wakeup
	;;#ASMEND
.LBB0_114:                              ;   in Loop: Header=BB0_83 Depth=2
	s_or_b32 exec_lo, exec_lo, s24
.LBB0_115:                              ;   in Loop: Header=BB0_83 Depth=2
	s_andn2_saveexec_b32 s23, s23
	s_cbranch_execz .LBB0_117
; %bb.116:                              ;   in Loop: Header=BB0_83 Depth=2
	s_waitcnt vmcnt(0) lgkmcnt(0)
	s_waitcnt_vscnt null, 0x0
	buffer_gl1_inv
	buffer_gl0_inv
	s_barrier
.LBB0_117:                              ;   in Loop: Header=BB0_83 Depth=2
	s_or_b32 exec_lo, exec_lo, s23
.LBB0_118:                              ;   in Loop: Header=BB0_83 Depth=2
	s_or_b32 exec_lo, exec_lo, s12
	v_add_nc_u32_e32 v19, 1, v98
	v_mov_b32_e32 v100, v4
	s_and_saveexec_b32 s23, s11
	s_cbranch_execnz .LBB0_125
; %bb.119:                              ;   in Loop: Header=BB0_83 Depth=2
	s_or_b32 exec_lo, exec_lo, s23
	s_and_saveexec_b32 s12, s7
	s_cbranch_execnz .LBB0_142
.LBB0_120:                              ;   in Loop: Header=BB0_83 Depth=2
	s_or_b32 exec_lo, exec_lo, s12
	s_and_saveexec_b32 s12, s9
	s_cbranch_execz .LBB0_122
.LBB0_121:                              ;   in Loop: Header=BB0_83 Depth=2
	v_add_co_u32 v48, vcc_lo, v48, 1
	v_add_co_ci_u32_e64 v49, null, 0, v49, vcc_lo
	s_waitcnt vmcnt(0) lgkmcnt(0)
	s_waitcnt_vscnt null, 0x0
	flat_store_dwordx2 v[50:51], v[48:49]
.LBB0_122:                              ;   in Loop: Header=BB0_83 Depth=2
	s_or_b32 exec_lo, exec_lo, s12
	s_waitcnt vmcnt(0) lgkmcnt(0)
	v_and_b32_e32 v20, 0x7ffffff8, v98
	v_mov_b32_e32 v21, v17
	v_cmp_gt_i32_e64 s12, s18, v100
	v_cmp_eq_u64_e32 vcc_lo, 0x7ffffff8, v[20:21]
	s_and_b32 s12, vcc_lo, s12
	s_and_saveexec_b32 s23, s12
	s_cbranch_execz .LBB0_82
; %bb.123:                              ;   in Loop: Header=BB0_83 Depth=2
	v_and_b32_e32 v18, 7, v59
	v_ashrrev_i32_e32 v101, 31, v100
	s_mov_b32 s24, 0
	v_mul_lo_u32 v20, s18, v18
	v_lshlrev_b64 v[22:23], 4, v[100:101]
	v_mov_b32_e32 v18, v19
	v_ashrrev_i32_e32 v21, 31, v20
	v_lshlrev_b64 v[20:21], 4, v[20:21]
	v_add_co_u32 v20, vcc_lo, v22, v20
	v_add_co_ci_u32_e64 v22, null, v23, v21, vcc_lo
	v_add_co_u32 v21, vcc_lo, v38, v20
	v_add_co_ci_u32_e64 v22, null, v39, v22, vcc_lo
.LBB0_124:                              ;   Parent Loop BB0_36 Depth=1
                                        ;     Parent Loop BB0_83 Depth=2
                                        ; =>    This Inner Loop Header: Depth=3
	v_mov_b32_e32 v19, v17
	v_add_nc_u32_e32 v100, v100, v1
	v_mov_b32_e32 v20, v18
	v_cmp_le_i32_e32 vcc_lo, s18, v100
	global_store_dwordx4 v[21:22], v[17:20], off
	v_add_co_u32 v21, s12, v21, v85
	v_add_co_ci_u32_e64 v22, null, v22, v86, s12
	s_or_b32 s24, vcc_lo, s24
	s_andn2_b32 exec_lo, exec_lo, s24
	s_cbranch_execnz .LBB0_124
	s_branch .LBB0_82
.LBB0_125:                              ;   in Loop: Header=BB0_83 Depth=2
	s_waitcnt vmcnt(0) lgkmcnt(0)
	v_ashrrev_i32_e32 v18, 31, v20
	v_and_b32_e32 v22, 7, v36
	v_and_b32_e32 v100, 7, v98
	v_mul_lo_u32 v23, v67, v20
	v_mad_u64_u32 v[20:21], null, v66, v20, 0
	v_mul_lo_u32 v18, v66, v18
	v_mul_lo_u32 v22, v22, s18
	;; [unrolled: 1-line block ×3, first 2 shown]
	v_add_nc_u32_e32 v60, 1, v36
	v_mov_b32_e32 v73, v56
	s_mov_b32 s24, 0
                                        ; implicit-def: $vgpr74
	v_add3_u32 v21, v21, v18, v23
	v_ashrrev_i32_e32 v23, 31, v22
	v_ashrrev_i32_e32 v101, 31, v100
	v_lshlrev_b64 v[20:21], 2, v[20:21]
	v_lshlrev_b64 v[22:23], 4, v[22:23]
	;; [unrolled: 1-line block ×3, first 2 shown]
	v_add_co_u32 v102, vcc_lo, v57, v20
	v_add_co_ci_u32_e64 v103, null, v58, v21, vcc_lo
	v_add_co_u32 v61, vcc_lo, v34, v22
	v_add_co_ci_u32_e64 v62, null, v35, v23, vcc_lo
	;; [unrolled: 2-line block ×3, first 2 shown]
	v_mov_b32_e32 v100, v4
	s_branch .LBB0_129
.LBB0_126:                              ;   in Loop: Header=BB0_129 Depth=3
	s_or_b32 exec_lo, exec_lo, s12
.LBB0_127:                              ;   in Loop: Header=BB0_129 Depth=3
	s_or_b32 exec_lo, exec_lo, s26
.LBB0_128:                              ;   in Loop: Header=BB0_129 Depth=3
	s_or_b32 exec_lo, exec_lo, s25
	v_lshlrev_b64 v[114:115], 2, v[83:84]
	s_waitcnt vmcnt(0)
	v_xor_b32_e32 v21, v20, v28
	v_xor_b32_e32 v23, v18, v28
	;; [unrolled: 1-line block ×4, first 2 shown]
	v_sub_nc_u32_e32 v73, v73, v83
	v_add_co_u32 v102, vcc_lo, v102, v114
	v_add_co_ci_u32_e64 v103, null, v103, v115, vcc_lo
	v_cmp_gt_u32_e32 vcc_lo, v23, v21
	v_mov_b32_e32 v21, v19
	v_add_nc_u32_e32 v100, v100, v1
	v_cndmask_b32_e32 v18, v18, v20, vcc_lo
	v_cmp_lt_u32_e32 vcc_lo, v101, v75
	v_cndmask_b32_e32 v20, v74, v22, vcc_lo
	v_cmp_gt_i32_e32 vcc_lo, 1, v73
	v_add_co_u32 v22, s12, v63, v112
	v_add_co_ci_u32_e64 v23, null, v72, v113, s12
	s_or_b32 s24, vcc_lo, s24
	global_store_dwordx4 v[22:23], v[18:21], off
	s_andn2_b32 exec_lo, exec_lo, s24
	s_cbranch_execz .LBB0_141
.LBB0_129:                              ;   Parent Loop BB0_36 Depth=1
                                        ;     Parent Loop BB0_83 Depth=2
                                        ; =>    This Loop Header: Depth=3
                                        ;         Child Loop BB0_135 Depth 4
	global_load_dword v18, v[102:103], off slc
	s_mov_b32 s12, exec_lo
	v_cmpx_ne_u32_e32 1, v73
	s_cbranch_execz .LBB0_131
; %bb.130:                              ;   in Loop: Header=BB0_129 Depth=3
	global_load_dword v74, v[102:103], off offset:4 slc
.LBB0_131:                              ;   in Loop: Header=BB0_129 Depth=3
	s_or_b32 exec_lo, exec_lo, s12
	v_mov_b32_e32 v101, v17
	v_lshlrev_b64 v[112:113], 4, v[100:101]
	v_add_co_u32 v114, vcc_lo, v61, v112
	v_add_co_ci_u32_e64 v115, null, v62, v113, vcc_lo
	v_cmp_eq_u32_e32 vcc_lo, 0, v46
	v_mov_b32_e32 v46, 1
	global_load_dwordx4 v[20:23], v[114:115], off slc
	s_and_saveexec_b32 s25, vcc_lo
	s_cbranch_execz .LBB0_128
; %bb.132:                              ;   in Loop: Header=BB0_129 Depth=3
	s_waitcnt vmcnt(0)
	v_cmp_ne_u32_e32 vcc_lo, v60, v21
	v_cmp_ne_u32_e64 s12, v60, v23
	v_mov_b32_e32 v46, 0
	s_or_b32 s12, vcc_lo, s12
	s_and_saveexec_b32 s26, s12
	s_cbranch_execz .LBB0_127
; %bb.133:                              ;   in Loop: Header=BB0_129 Depth=3
	s_mov_b32 s40, 1
	s_mov_b32 s28, 0
                                        ; implicit-def: $sgpr27
                                        ; implicit-def: $sgpr29
	s_inst_prefetch 0x1
	s_branch .LBB0_135
	.p2align	6
.LBB0_134:                              ;   in Loop: Header=BB0_135 Depth=4
	s_or_b32 exec_lo, exec_lo, s42
	s_and_b32 s12, exec_lo, s12
	s_or_b32 s28, s12, s28
	s_andn2_b32 s12, s27, exec_lo
	s_and_b32 s27, s29, exec_lo
	s_or_b32 s27, s12, s27
	s_andn2_b32 exec_lo, exec_lo, s28
	s_cbranch_execz .LBB0_139
.LBB0_135:                              ;   Parent Loop BB0_36 Depth=1
                                        ;     Parent Loop BB0_83 Depth=2
                                        ;       Parent Loop BB0_129 Depth=3
                                        ; =>      This Inner Loop Header: Depth=4
	global_load_dwordx4 v[20:23], v[114:115], off slc
	s_add_i32 s40, s40, 1
	s_mov_b32 s12, -1
	s_cmpk_lg_i32 s40, 0x2710
	s_mov_b32 s41, -1
                                        ; implicit-def: $vgpr101
	s_cbranch_scc0 .LBB0_137
; %bb.136:                              ;   in Loop: Header=BB0_135 Depth=4
	s_or_b32 s29, s29, exec_lo
	s_and_saveexec_b32 s42, s41
	s_cbranch_execz .LBB0_134
	s_branch .LBB0_138
	.p2align	6
.LBB0_137:                              ;   in Loop: Header=BB0_135 Depth=4
	s_trap 2
	ds_read_b64 v[75:76], v0
	s_mov_b32 s40, 0
	s_waitcnt vmcnt(0) lgkmcnt(0)
	s_waitcnt_vscnt null, 0x0
	flat_load_dword v101, v[75:76] glc dlc
	s_waitcnt vmcnt(0) lgkmcnt(0)
	buffer_gl1_inv
	buffer_gl0_inv
	v_cmp_eq_u32_e32 vcc_lo, 0, v101
	s_orn2_b32 s41, vcc_lo, exec_lo
	s_or_b32 s29, s29, exec_lo
	s_and_saveexec_b32 s42, s41
	s_cbranch_execz .LBB0_134
.LBB0_138:                              ;   in Loop: Header=BB0_135 Depth=4
	s_waitcnt vmcnt(0)
	v_cmp_eq_u32_e32 vcc_lo, v60, v21
	v_cmp_eq_u32_e64 s12, v60, v23
	s_andn2_b32 s29, s29, exec_lo
	s_and_b32 s12, vcc_lo, s12
	s_orn2_b32 s12, s12, exec_lo
	s_branch .LBB0_134
.LBB0_139:                              ;   in Loop: Header=BB0_129 Depth=3
	s_inst_prefetch 0x2
	s_or_b32 exec_lo, exec_lo, s28
	v_mov_b32_e32 v46, 0
	s_and_saveexec_b32 s12, s27
	s_xor_b32 s12, exec_lo, s12
	s_cbranch_execz .LBB0_126
; %bb.140:                              ;   in Loop: Header=BB0_129 Depth=3
	v_mov_b32_e32 v46, 1
	s_waitcnt vmcnt(0)
	s_waitcnt_vscnt null, 0x0
	ds_write_b32 v0, v101
	s_trap 2
	s_branch .LBB0_126
.LBB0_141:                              ;   in Loop: Header=BB0_83 Depth=2
	s_or_b32 exec_lo, exec_lo, s24
	s_or_b32 exec_lo, exec_lo, s23
	s_and_saveexec_b32 s12, s7
	s_cbranch_execz .LBB0_120
.LBB0_142:                              ;   in Loop: Header=BB0_83 Depth=2
	s_and_saveexec_b32 s23, s19
	s_xor_b32 s23, exec_lo, s23
	s_cbranch_execz .LBB0_157
; %bb.143:                              ;   in Loop: Header=BB0_83 Depth=2
	s_and_saveexec_b32 s24, s8
	s_cbranch_execz .LBB0_156
; %bb.144:                              ;   in Loop: Header=BB0_83 Depth=2
	s_mov_b32 s26, exec_lo
	s_mov_b32 s25, exec_lo
	v_mbcnt_lo_u32_b32 v18, s26, 0
	s_waitcnt vmcnt(0) lgkmcnt(0)
	s_waitcnt_vscnt null, 0x0
	buffer_gl1_inv
	buffer_gl0_inv
	v_cmpx_eq_u32_e32 0, v18
	s_cbranch_execz .LBB0_146
; %bb.145:                              ;   in Loop: Header=BB0_83 Depth=2
	s_bcnt1_i32_b32 s26, s26
	v_mov_b32_e32 v21, v17
	v_mov_b32_e32 v20, s26
	ds_add_u64 v0, v[20:21]
	s_trap 2
.LBB0_146:                              ;   in Loop: Header=BB0_83 Depth=2
	s_or_b32 exec_lo, exec_lo, s25
	s_trap 2
	ds_read_b64 v[20:21], v0
	s_waitcnt lgkmcnt(0)
	buffer_gl0_inv
	v_add_co_u32 v2, vcc_lo, v2, v87
	v_add_co_ci_u32_e64 v3, null, 0, v3, vcc_lo
	s_mov_b32 s25, exec_lo
	v_cmpx_lt_u64_e64 v[20:21], v[2:3]
	s_cbranch_execz .LBB0_155
; %bb.147:                              ;   in Loop: Header=BB0_83 Depth=2
	s_mov_b32 s26, 0
	s_mov_b32 s29, 0
                                        ; implicit-def: $sgpr27
                                        ; implicit-def: $sgpr28
	s_inst_prefetch 0x1
	s_branch .LBB0_149
	.p2align	6
.LBB0_148:                              ;   in Loop: Header=BB0_149 Depth=3
	s_or_b32 exec_lo, exec_lo, s41
	s_and_b32 s40, exec_lo, s42
	s_or_b32 s26, s40, s26
	s_andn2_b32 s27, s27, exec_lo
	s_and_b32 s40, s28, exec_lo
	s_or_b32 s27, s27, s40
	s_andn2_b32 exec_lo, exec_lo, s26
	s_cbranch_execz .LBB0_153
.LBB0_149:                              ;   Parent Loop BB0_36 Depth=1
                                        ;     Parent Loop BB0_83 Depth=2
                                        ; =>    This Inner Loop Header: Depth=3
	s_add_i32 s29, s29, 1
	s_cmpk_lg_i32 s29, 0x2710
	s_cselect_b32 s40, -1, 0
	s_and_b32 vcc_lo, exec_lo, s40
	s_cbranch_vccz .LBB0_151
; %bb.150:                              ;   in Loop: Header=BB0_149 Depth=3
	s_mov_b32 s42, -1
	s_or_b32 s28, s28, exec_lo
	s_and_saveexec_b32 s41, s40
	s_cbranch_execz .LBB0_148
	s_branch .LBB0_152
	.p2align	6
.LBB0_151:                              ;   in Loop: Header=BB0_149 Depth=3
	s_trap 2
	ds_read_b64 v[20:21], v0
	s_andn2_b32 s40, s40, exec_lo
	s_mov_b32 s29, 0
	s_waitcnt lgkmcnt(0)
	flat_load_dword v18, v[20:21] glc dlc
	s_waitcnt vmcnt(0) lgkmcnt(0)
	buffer_gl1_inv
	buffer_gl0_inv
	v_cmp_eq_u32_e32 vcc_lo, 0, v18
	s_and_b32 s41, vcc_lo, exec_lo
	s_or_b32 s40, s40, s41
	s_mov_b32 s42, -1
	s_or_b32 s28, s28, exec_lo
	s_and_saveexec_b32 s41, s40
	s_cbranch_execz .LBB0_148
.LBB0_152:                              ;   in Loop: Header=BB0_149 Depth=3
	s_sleep 1
	s_trap 2
	ds_read_b64 v[20:21], v0
	s_waitcnt lgkmcnt(0)
	buffer_gl0_inv
	s_andn2_b32 s28, s28, exec_lo
	v_cmp_ge_u64_e32 vcc_lo, v[20:21], v[2:3]
	s_orn2_b32 s42, vcc_lo, exec_lo
	s_branch .LBB0_148
.LBB0_153:                              ;   in Loop: Header=BB0_83 Depth=2
	s_inst_prefetch 0x2
	s_or_b32 exec_lo, exec_lo, s26
	s_and_saveexec_b32 s26, s27
	s_xor_b32 s26, exec_lo, s26
	s_cbranch_execz .LBB0_155
; %bb.154:                              ;   in Loop: Header=BB0_83 Depth=2
	ds_write_b32 v0, v45
	s_trap 2
.LBB0_155:                              ;   in Loop: Header=BB0_83 Depth=2
	s_or_b32 exec_lo, exec_lo, s25
	;;#ASMSTART
	s_wakeup
	;;#ASMEND
.LBB0_156:                              ;   in Loop: Header=BB0_83 Depth=2
	s_or_b32 exec_lo, exec_lo, s24
.LBB0_157:                              ;   in Loop: Header=BB0_83 Depth=2
	s_andn2_saveexec_b32 s23, s23
	s_cbranch_execz .LBB0_159
; %bb.158:                              ;   in Loop: Header=BB0_83 Depth=2
	s_waitcnt vmcnt(0) lgkmcnt(0)
	s_waitcnt_vscnt null, 0x0
	buffer_gl1_inv
	buffer_gl0_inv
	s_barrier
.LBB0_159:                              ;   in Loop: Header=BB0_83 Depth=2
	s_or_b32 exec_lo, exec_lo, s23
	s_or_b32 exec_lo, exec_lo, s12
	s_and_saveexec_b32 s12, s9
	s_cbranch_execnz .LBB0_121
	s_branch .LBB0_122
.LBB0_160:                              ;   in Loop: Header=BB0_36 Depth=1
	v_mov_b32_e32 v22, v98
	v_mov_b32_e32 v23, v99
	s_and_saveexec_b32 s22, s11
	s_cbranch_execnz .LBB0_163
; %bb.161:                              ;   in Loop: Header=BB0_36 Depth=1
	s_or_b32 exec_lo, exec_lo, s22
	s_and_saveexec_b32 s11, s7
	s_cbranch_execnz .LBB0_186
.LBB0_162:                              ;   in Loop: Header=BB0_36 Depth=1
	s_or_b32 exec_lo, exec_lo, s11
	s_and_saveexec_b32 s11, s9
	s_cbranch_execz .LBB0_35
	s_branch .LBB0_204
.LBB0_163:                              ;   in Loop: Header=BB0_36 Depth=1
	flat_load_dword v18, v[24:25]
	v_and_b32_e32 v21, 7, v36
	v_add_nc_u32_e32 v103, 1, v36
	v_mov_b32_e32 v100, v4
	s_mov_b32 s23, 0
                                        ; implicit-def: $vgpr114
	s_waitcnt vmcnt(0) lgkmcnt(0)
	v_ashrrev_i32_e32 v20, 31, v18
	v_mul_lo_u32 v98, v67, v18
	v_mad_u64_u32 v[18:19], null, v66, v18, 0
	v_mul_lo_u32 v99, v66, v20
	v_mul_lo_u32 v20, v21, s18
	v_add3_u32 v19, v19, v99, v98
	v_ashrrev_i32_e32 v21, 31, v20
	v_add_co_u32 v98, vcc_lo, v11, v96
	v_add_co_ci_u32_e64 v99, null, v12, v97, vcc_lo
	v_lshlrev_b64 v[18:19], 2, v[18:19]
	v_lshlrev_b64 v[20:21], 4, v[20:21]
	v_add_co_u32 v96, vcc_lo, v118, v96
	v_add_co_ci_u32_e64 v97, null, v119, v97, vcc_lo
	v_add_co_u32 v18, vcc_lo, v98, v18
	v_add_co_ci_u32_e64 v19, null, v99, v19, vcc_lo
	v_add_co_u32 v112, vcc_lo, v34, v20
	v_add_co_ci_u32_e64 v113, null, v35, v21, vcc_lo
	v_add_co_u32 v98, vcc_lo, v18, v81
	v_add_co_ci_u32_e64 v99, null, v19, v82, vcc_lo
	s_branch .LBB0_165
.LBB0_164:                              ;   in Loop: Header=BB0_165 Depth=2
	v_lshlrev_b64 v[18:19], 2, v[83:84]
	v_sub_nc_u32_e32 v56, v56, v83
	v_add_nc_u32_e32 v100, v100, v1
	v_cmp_gt_i32_e32 vcc_lo, 1, v56
	v_add_co_u32 v98, s11, v98, v18
	v_add_co_ci_u32_e64 v99, null, v99, v19, s11
	v_add_co_u32 v96, s11, v96, v18
	v_add_co_ci_u32_e64 v97, null, v97, v19, s11
	s_or_b32 s23, vcc_lo, s23
	s_andn2_b32 exec_lo, exec_lo, s23
	s_cbranch_execz .LBB0_185
.LBB0_165:                              ;   Parent Loop BB0_36 Depth=1
                                        ; =>  This Loop Header: Depth=2
                                        ;       Child Loop BB0_171 Depth 3
	global_load_dword v115, v[98:99], off slc
	v_cmp_ne_u32_e32 vcc_lo, 1, v56
	s_and_saveexec_b32 s11, vcc_lo
	s_cbranch_execz .LBB0_167
; %bb.166:                              ;   in Loop: Header=BB0_165 Depth=2
	global_load_dword v114, v[98:99], off offset:4 slc
.LBB0_167:                              ;   in Loop: Header=BB0_165 Depth=2
	s_or_b32 exec_lo, exec_lo, s11
	v_mov_b32_e32 v101, v17
	v_lshlrev_b64 v[18:19], 4, v[100:101]
	v_add_co_u32 v101, s11, v112, v18
	v_add_co_ci_u32_e64 v102, null, v113, v19, s11
	v_cmp_eq_u32_e64 s11, 0, v46
	v_mov_b32_e32 v46, 1
	global_load_dwordx4 v[18:21], v[101:102], off slc
	s_and_saveexec_b32 s24, s11
	s_cbranch_execz .LBB0_179
; %bb.168:                              ;   in Loop: Header=BB0_165 Depth=2
	s_waitcnt vmcnt(0)
	v_cmp_ne_u32_e64 s11, v103, v19
	v_cmp_ne_u32_e64 s12, v103, v21
	v_mov_b32_e32 v46, 0
	s_or_b32 s11, s11, s12
	s_and_saveexec_b32 s25, s11
	s_cbranch_execz .LBB0_178
; %bb.169:                              ;   in Loop: Header=BB0_165 Depth=2
	s_mov_b32 s29, 1
	s_mov_b32 s27, 0
                                        ; implicit-def: $sgpr26
                                        ; implicit-def: $sgpr28
	s_inst_prefetch 0x1
	s_branch .LBB0_171
	.p2align	6
.LBB0_170:                              ;   in Loop: Header=BB0_171 Depth=3
	s_or_b32 exec_lo, exec_lo, s40
	s_and_b32 s11, exec_lo, s12
	s_or_b32 s27, s11, s27
	s_andn2_b32 s11, s26, exec_lo
	s_and_b32 s12, s28, exec_lo
	s_or_b32 s26, s11, s12
	s_andn2_b32 exec_lo, exec_lo, s27
	s_cbranch_execz .LBB0_175
.LBB0_171:                              ;   Parent Loop BB0_36 Depth=1
                                        ;     Parent Loop BB0_165 Depth=2
                                        ; =>    This Inner Loop Header: Depth=3
	global_load_dwordx4 v[18:21], v[101:102], off slc
	s_add_i32 s29, s29, 1
	s_mov_b32 s12, -1
	s_cmpk_lg_i32 s29, 0x2710
	s_mov_b32 s11, -1
                                        ; implicit-def: $vgpr47
	s_cbranch_scc0 .LBB0_173
; %bb.172:                              ;   in Loop: Header=BB0_171 Depth=3
	s_or_b32 s28, s28, exec_lo
	s_and_saveexec_b32 s40, s11
	s_cbranch_execz .LBB0_170
	s_branch .LBB0_174
	.p2align	6
.LBB0_173:                              ;   in Loop: Header=BB0_171 Depth=3
	s_trap 2
	ds_read_b64 v[46:47], v0
	s_mov_b32 s29, 0
	s_waitcnt vmcnt(0) lgkmcnt(0)
	s_waitcnt_vscnt null, 0x0
	flat_load_dword v47, v[46:47] glc dlc
	s_waitcnt vmcnt(0) lgkmcnt(0)
	buffer_gl1_inv
	buffer_gl0_inv
	v_cmp_eq_u32_e64 s11, 0, v47
	s_orn2_b32 s11, s11, exec_lo
	s_or_b32 s28, s28, exec_lo
	s_and_saveexec_b32 s40, s11
	s_cbranch_execz .LBB0_170
.LBB0_174:                              ;   in Loop: Header=BB0_171 Depth=3
	s_waitcnt vmcnt(0)
	v_cmp_eq_u32_e64 s11, v103, v19
	v_cmp_eq_u32_e64 s12, v103, v21
	s_andn2_b32 s28, s28, exec_lo
	s_and_b32 s11, s11, s12
	s_orn2_b32 s12, s11, exec_lo
	s_branch .LBB0_170
.LBB0_175:                              ;   in Loop: Header=BB0_165 Depth=2
	s_inst_prefetch 0x2
	s_or_b32 exec_lo, exec_lo, s27
	v_mov_b32_e32 v46, 0
	s_and_saveexec_b32 s11, s26
	s_xor_b32 s11, exec_lo, s11
	s_cbranch_execz .LBB0_177
; %bb.176:                              ;   in Loop: Header=BB0_165 Depth=2
	v_mov_b32_e32 v46, 1
	s_waitcnt vmcnt(0)
	s_waitcnt_vscnt null, 0x0
	ds_write_b32 v0, v47
	s_trap 2
.LBB0_177:                              ;   in Loop: Header=BB0_165 Depth=2
	s_or_b32 exec_lo, exec_lo, s11
.LBB0_178:                              ;   in Loop: Header=BB0_165 Depth=2
	s_or_b32 exec_lo, exec_lo, s25
.LBB0_179:                              ;   in Loop: Header=BB0_165 Depth=2
	s_or_b32 exec_lo, exec_lo, s24
	s_waitcnt vmcnt(0)
	v_xor_b32_e32 v19, v18, v28
	v_xor_b32_e32 v101, v115, v28
	v_cmp_ne_u32_e64 s11, 1, v56
	v_xor_b32_e32 v102, v20, v28
	v_xor_b32_e32 v47, v114, v28
	v_cmp_gt_u32_e64 s12, v101, v19
	s_and_b32 s11, s10, s11
	v_cndmask_b32_e64 v21, 0, 1, s11
	v_cndmask_b32_e64 v18, v115, v18, s12
	v_cmp_lt_u32_e64 s12, v102, v47
	v_cmp_ne_u32_e64 s11, 0, v21
	v_cndmask_b32_e64 v19, v114, v20, s12
	s_cmp_lg_u32 s11, exec_lo
	s_mov_b32 s11, -1
	s_cbranch_scc0 .LBB0_183
; %bb.180:                              ;   in Loop: Header=BB0_165 Depth=2
	flat_store_dword v[96:97], v18
	s_and_saveexec_b32 s11, vcc_lo
	s_cbranch_execz .LBB0_182
; %bb.181:                              ;   in Loop: Header=BB0_165 Depth=2
	flat_store_dword v[96:97], v19 offset:4
.LBB0_182:                              ;   in Loop: Header=BB0_165 Depth=2
	s_or_b32 exec_lo, exec_lo, s11
	s_mov_b32 s11, 0
.LBB0_183:                              ;   in Loop: Header=BB0_165 Depth=2
	s_andn2_b32 vcc_lo, exec_lo, s11
	s_cbranch_vccnz .LBB0_164
; %bb.184:                              ;   in Loop: Header=BB0_165 Depth=2
	global_store_dwordx2 v[96:97], v[18:19], off
	s_branch .LBB0_164
.LBB0_185:                              ;   in Loop: Header=BB0_36 Depth=1
	s_or_b32 exec_lo, exec_lo, s23
	s_or_b32 exec_lo, exec_lo, s22
	s_and_saveexec_b32 s11, s7
	s_cbranch_execz .LBB0_162
.LBB0_186:                              ;   in Loop: Header=BB0_36 Depth=1
	s_and_saveexec_b32 s12, s19
	s_xor_b32 s12, exec_lo, s12
	s_cbranch_execz .LBB0_201
; %bb.187:                              ;   in Loop: Header=BB0_36 Depth=1
	s_and_saveexec_b32 s22, s8
	s_cbranch_execz .LBB0_200
; %bb.188:                              ;   in Loop: Header=BB0_36 Depth=1
	s_mov_b32 s24, exec_lo
	s_mov_b32 s23, exec_lo
	v_mbcnt_lo_u32_b32 v18, s24, 0
	s_waitcnt lgkmcnt(0)
	s_waitcnt_vscnt null, 0x0
	buffer_gl1_inv
	buffer_gl0_inv
	v_cmpx_eq_u32_e32 0, v18
	s_cbranch_execz .LBB0_190
; %bb.189:                              ;   in Loop: Header=BB0_36 Depth=1
	s_bcnt1_i32_b32 s24, s24
	v_mov_b32_e32 v19, v17
	v_mov_b32_e32 v18, s24
	ds_add_u64 v0, v[18:19]
	s_trap 2
.LBB0_190:                              ;   in Loop: Header=BB0_36 Depth=1
	s_or_b32 exec_lo, exec_lo, s23
	s_trap 2
	ds_read_b64 v[18:19], v0
	s_waitcnt lgkmcnt(0)
	buffer_gl0_inv
	v_add_co_u32 v2, vcc_lo, v2, v87
	v_add_co_ci_u32_e64 v3, null, 0, v3, vcc_lo
	s_mov_b32 s23, exec_lo
	v_cmpx_lt_u64_e64 v[18:19], v[2:3]
	s_cbranch_execz .LBB0_199
; %bb.191:                              ;   in Loop: Header=BB0_36 Depth=1
	s_mov_b32 s24, 0
	s_mov_b32 s27, 0
                                        ; implicit-def: $sgpr25
                                        ; implicit-def: $sgpr26
	s_inst_prefetch 0x1
	s_branch .LBB0_193
	.p2align	6
.LBB0_192:                              ;   in Loop: Header=BB0_193 Depth=2
	s_or_b32 exec_lo, exec_lo, s29
	s_and_b32 s28, exec_lo, s40
	s_or_b32 s24, s28, s24
	s_andn2_b32 s25, s25, exec_lo
	s_and_b32 s28, s26, exec_lo
	s_or_b32 s25, s25, s28
	s_andn2_b32 exec_lo, exec_lo, s24
	s_cbranch_execz .LBB0_197
.LBB0_193:                              ;   Parent Loop BB0_36 Depth=1
                                        ; =>  This Inner Loop Header: Depth=2
	s_add_i32 s27, s27, 1
	s_cmpk_lg_i32 s27, 0x2710
	s_cselect_b32 s28, -1, 0
	s_and_b32 vcc_lo, exec_lo, s28
	s_cbranch_vccz .LBB0_195
; %bb.194:                              ;   in Loop: Header=BB0_193 Depth=2
	s_mov_b32 s40, -1
	s_or_b32 s26, s26, exec_lo
	s_and_saveexec_b32 s29, s28
	s_cbranch_execz .LBB0_192
	s_branch .LBB0_196
	.p2align	6
.LBB0_195:                              ;   in Loop: Header=BB0_193 Depth=2
	s_trap 2
	ds_read_b64 v[18:19], v0
	s_andn2_b32 s28, s28, exec_lo
	s_mov_b32 s27, 0
	s_waitcnt lgkmcnt(0)
	flat_load_dword v18, v[18:19] glc dlc
	s_waitcnt vmcnt(0) lgkmcnt(0)
	buffer_gl1_inv
	buffer_gl0_inv
	v_cmp_eq_u32_e32 vcc_lo, 0, v18
	s_and_b32 s29, vcc_lo, exec_lo
	s_or_b32 s28, s28, s29
	s_mov_b32 s40, -1
	s_or_b32 s26, s26, exec_lo
	s_and_saveexec_b32 s29, s28
	s_cbranch_execz .LBB0_192
.LBB0_196:                              ;   in Loop: Header=BB0_193 Depth=2
	s_sleep 1
	s_trap 2
	ds_read_b64 v[18:19], v0
	s_waitcnt lgkmcnt(0)
	buffer_gl0_inv
	s_andn2_b32 s26, s26, exec_lo
	v_cmp_ge_u64_e32 vcc_lo, v[18:19], v[2:3]
	s_orn2_b32 s40, vcc_lo, exec_lo
	s_branch .LBB0_192
.LBB0_197:                              ;   in Loop: Header=BB0_36 Depth=1
	s_inst_prefetch 0x2
	s_or_b32 exec_lo, exec_lo, s24
	s_and_saveexec_b32 s24, s25
	s_xor_b32 s24, exec_lo, s24
	s_cbranch_execz .LBB0_199
; %bb.198:                              ;   in Loop: Header=BB0_36 Depth=1
	ds_write_b32 v0, v45
	s_trap 2
.LBB0_199:                              ;   in Loop: Header=BB0_36 Depth=1
	s_or_b32 exec_lo, exec_lo, s23
	;;#ASMSTART
	s_wakeup
	;;#ASMEND
.LBB0_200:                              ;   in Loop: Header=BB0_36 Depth=1
	s_or_b32 exec_lo, exec_lo, s22
.LBB0_201:                              ;   in Loop: Header=BB0_36 Depth=1
	s_andn2_saveexec_b32 s12, s12
	s_cbranch_execz .LBB0_203
; %bb.202:                              ;   in Loop: Header=BB0_36 Depth=1
	s_waitcnt lgkmcnt(0)
	s_waitcnt_vscnt null, 0x0
	buffer_gl1_inv
	buffer_gl0_inv
	s_barrier
.LBB0_203:                              ;   in Loop: Header=BB0_36 Depth=1
	s_or_b32 exec_lo, exec_lo, s12
	s_or_b32 exec_lo, exec_lo, s11
	s_and_saveexec_b32 s11, s9
	s_cbranch_execz .LBB0_35
.LBB0_204:                              ;   in Loop: Header=BB0_36 Depth=1
	v_add_co_u32 v48, vcc_lo, v48, 1
	v_add_co_ci_u32_e64 v49, null, 0, v49, vcc_lo
	s_waitcnt lgkmcnt(0)
	s_waitcnt_vscnt null, 0x0
	flat_store_dwordx2 v[50:51], v[48:49]
	s_branch .LBB0_35
.LBB0_205:
	s_or_b32 exec_lo, exec_lo, s20
	s_or_b32 exec_lo, exec_lo, s17
	s_and_saveexec_b32 s5, s16
	s_cbranch_execz .LBB0_20
.LBB0_206:
	s_waitcnt vmcnt(0) lgkmcnt(0)
	flat_store_dwordx2 v[32:33], v[48:49] offset:104
	s_or_b32 exec_lo, exec_lo, s5
	s_and_saveexec_b32 s5, s4
	s_cbranch_execnz .LBB0_21
	s_branch .LBB0_22
.LBB0_207:
	s_inst_prefetch 0x2
	s_or_b32 exec_lo, exec_lo, s8
	s_and_saveexec_b32 s8, s9
	s_xor_b32 s8, exec_lo, s8
	s_cbranch_execz .LBB0_209
; %bb.208:
	v_mov_b32_e32 v0, 1
	ds_write_b32 v0, v0
	s_trap 2
.LBB0_209:
	s_or_b32 exec_lo, exec_lo, s7
	;;#ASMSTART
	s_wakeup
	;;#ASMEND
.LBB0_210:
	s_or_b32 exec_lo, exec_lo, s6
.LBB0_211:
	s_andn2_saveexec_b32 s5, s5
	s_cbranch_execz .LBB0_213
; %bb.212:
	s_waitcnt vmcnt(0) lgkmcnt(0)
	s_waitcnt_vscnt null, 0x0
	buffer_gl1_inv
	buffer_gl0_inv
	s_barrier
.LBB0_213:
	s_or_b32 exec_lo, exec_lo, s4
	s_clause 0x14
	buffer_load_dword v76, off, s[0:3], s32
	buffer_load_dword v75, off, s[0:3], s32 offset:4
	buffer_load_dword v74, off, s[0:3], s32 offset:8
	;; [unrolled: 1-line block ×20, first 2 shown]
	s_waitcnt vmcnt(0) lgkmcnt(0)
	s_setpc_b64 s[30:31]
.Lfunc_end0:
	.size	_ZN12_GLOBAL__N_17runRingIj10FuncMinMaxIjE7ProtoLLLi0ELi1ELi0EEEviiP15ncclDevWorkColl, .Lfunc_end0-_ZN12_GLOBAL__N_17runRingIj10FuncMinMaxIjE7ProtoLLLi0ELi1ELi0EEEviiP15ncclDevWorkColl
                                        ; -- End function
	.set .L_ZN12_GLOBAL__N_17runRingIj10FuncMinMaxIjE7ProtoLLLi0ELi1ELi0EEEviiP15ncclDevWorkColl.num_vgpr, 120
	.set .L_ZN12_GLOBAL__N_17runRingIj10FuncMinMaxIjE7ProtoLLLi0ELi1ELi0EEEviiP15ncclDevWorkColl.num_agpr, 0
	.set .L_ZN12_GLOBAL__N_17runRingIj10FuncMinMaxIjE7ProtoLLLi0ELi1ELi0EEEviiP15ncclDevWorkColl.numbered_sgpr, 45
	.set .L_ZN12_GLOBAL__N_17runRingIj10FuncMinMaxIjE7ProtoLLLi0ELi1ELi0EEEviiP15ncclDevWorkColl.num_named_barrier, 0
	.set .L_ZN12_GLOBAL__N_17runRingIj10FuncMinMaxIjE7ProtoLLLi0ELi1ELi0EEEviiP15ncclDevWorkColl.private_seg_size, 88
	.set .L_ZN12_GLOBAL__N_17runRingIj10FuncMinMaxIjE7ProtoLLLi0ELi1ELi0EEEviiP15ncclDevWorkColl.uses_vcc, 1
	.set .L_ZN12_GLOBAL__N_17runRingIj10FuncMinMaxIjE7ProtoLLLi0ELi1ELi0EEEviiP15ncclDevWorkColl.uses_flat_scratch, 1
	.set .L_ZN12_GLOBAL__N_17runRingIj10FuncMinMaxIjE7ProtoLLLi0ELi1ELi0EEEviiP15ncclDevWorkColl.has_dyn_sized_stack, 0
	.set .L_ZN12_GLOBAL__N_17runRingIj10FuncMinMaxIjE7ProtoLLLi0ELi1ELi0EEEviiP15ncclDevWorkColl.has_recursion, 0
	.set .L_ZN12_GLOBAL__N_17runRingIj10FuncMinMaxIjE7ProtoLLLi0ELi1ELi0EEEviiP15ncclDevWorkColl.has_indirect_call, 0
	.section	.AMDGPU.csdata,"",@progbits
; Function info:
; codeLenInByte = 8280
; TotalNumSgprs: 47
; NumVgprs: 120
; ScratchSize: 88
; MemoryBound: 0
	.text
	.p2align	2                               ; -- Begin function _Z50ncclDevFunc_ReduceScatter_RING_LL_MinMax_u32_0_0_1v
	.type	_Z50ncclDevFunc_ReduceScatter_RING_LL_MinMax_u32_0_0_1v,@function
_Z50ncclDevFunc_ReduceScatter_RING_LL_MinMax_u32_0_0_1v: ; @_Z50ncclDevFunc_ReduceScatter_RING_LL_MinMax_u32_0_0_1v
; %bb.0:
	s_waitcnt vmcnt(0) expcnt(0) lgkmcnt(0)
	s_mov_b32 s58, s33
	s_mov_b32 s33, s32
	s_or_saveexec_b32 s4, -1
	buffer_store_dword v42, off, s[0:3], s33 offset:8 ; 4-byte Folded Spill
	s_mov_b32 exec_lo, s4
	s_addk_i32 s32, 0x200
	buffer_store_dword v40, off, s[0:3], s33 offset:4 ; 4-byte Folded Spill
	buffer_store_dword v41, off, s[0:3], s33 ; 4-byte Folded Spill
	v_writelane_b32 v42, s30, 0
	v_writelane_b32 v42, s31, 1
	s_trap 2
	ds_read_b32 v2, v0
	v_and_b32_e32 v40, 0x3ff, v31
	s_mov_b32 s45, s12
	s_mov_b64 s[46:47], s[8:9]
	s_mov_b32 s4, exec_lo
	s_waitcnt lgkmcnt(0)
	v_cmpx_lt_i32_e64 v40, v2
	s_cbranch_execz .LBB1_5
; %bb.1:
	s_load_dword s5, s[46:47], 0x0
	v_mov_b32_e32 v1, 0
	v_mov_b32_e32 v5, v40
                                        ; implicit-def: $vgpr6
	s_waitcnt lgkmcnt(0)
	s_cmp_lt_u32 s45, s5
	s_cselect_b32 s5, 12, 18
	s_add_u32 s6, s46, s5
	s_addc_u32 s7, s47, 0
	s_mov_b32 s5, 0
	global_load_ushort v3, v1, s[6:7]
	s_trap 2
	ds_read_b32 v0, v0
	s_waitcnt vmcnt(0) lgkmcnt(0)
	v_mul_lo_u32 v4, v0, v3
	s_branch .LBB1_3
	.p2align	6
.LBB1_2:                                ;   in Loop: Header=BB1_3 Depth=1
	s_or_b32 exec_lo, exec_lo, s6
	v_add_nc_u32_e32 v5, v5, v3
	v_add_nc_u32_e32 v6, v6, v4
	v_cmp_ge_i32_e32 vcc_lo, v5, v2
	s_or_b32 s5, vcc_lo, s5
	s_andn2_b32 exec_lo, exec_lo, s5
	s_cbranch_execz .LBB1_5
.LBB1_3:                                ; =>This Inner Loop Header: Depth=1
	ds_read_b32 v0, v6
	s_mov_b32 s6, exec_lo
	s_waitcnt lgkmcnt(0)
	v_and_b32_e32 v0, 0x1000000, v0
	v_cmpx_ne_u32_e32 0, v0
	s_cbranch_execz .LBB1_2
; %bb.4:                                ;   in Loop: Header=BB1_3 Depth=1
	ds_read_b64 v[7:8], v6 offset:104
	s_waitcnt lgkmcnt(0)
	flat_load_dword v0, v[7:8]
	s_waitcnt vmcnt(0) lgkmcnt(0)
	ds_write_b64 v6, v[0:1] offset:104
	s_branch .LBB1_2
.LBB1_5:
	s_or_b32 exec_lo, exec_lo, s4
	s_waitcnt lgkmcnt(0)
	s_waitcnt_vscnt null, 0x0
	s_barrier
	buffer_gl0_inv
	s_trap 2
	ds_read_b32 v0, v0
	s_waitcnt lgkmcnt(0)
	v_cmp_gt_i32_e32 vcc_lo, 1, v0
	s_cbranch_vccnz .LBB1_13
; %bb.6:
	v_mov_b32_e32 v41, 5
	s_mov_b32 s56, 0
	s_inst_prefetch 0x1
	s_branch .LBB1_8
	.p2align	6
.LBB1_7:                                ;   in Loop: Header=BB1_8 Depth=1
	s_or_b32 exec_lo, exec_lo, s57
	s_trap 2
	ds_read_b32 v0, v0
	s_add_i32 s56, s56, 1
	s_waitcnt lgkmcnt(0)
	v_cmp_lt_i32_e32 vcc_lo, s56, v0
	s_cbranch_vccz .LBB1_13
.LBB1_8:                                ; =>This Inner Loop Header: Depth=1
	s_trap 2
	ds_read_b32 v0, v0
	s_cmp_eq_u32 s56, 0
	s_cbranch_scc1 .LBB1_11
; %bb.9:                                ;   in Loop: Header=BB1_8 Depth=1
	s_trap 2
	s_waitcnt lgkmcnt(0)
	ds_read_b32 v1, v0
	s_waitcnt lgkmcnt(0)
	v_xor_b32_e32 v1, v1, v0
	v_and_b32_e32 v1, 0xff0000, v1
	v_cmp_eq_u32_e32 vcc_lo, 0, v1
	s_cbranch_vccnz .LBB1_11
; %bb.10:                               ;   in Loop: Header=BB1_8 Depth=1
	s_barrier
	buffer_gl0_inv
	ds_read_b32 v0, v0
.LBB1_11:                               ;   in Loop: Header=BB1_8 Depth=1
	s_waitcnt lgkmcnt(0)
	v_lshlrev_b32_sdwa v1, v41, v0 dst_sel:DWORD dst_unused:UNUSED_PAD src0_sel:DWORD src1_sel:BYTE_2
	s_mov_b32 s57, exec_lo
	v_cmpx_lt_u32_e64 v40, v1
	s_cbranch_execz .LBB1_7
; %bb.12:                               ;   in Loop: Header=BB1_8 Depth=1
	s_mov_b64 s[4:5], src_shared_base
	v_mov_b32_e32 v0, v40
	v_mov_b32_e32 v3, s5
	s_getpc_b64 s[6:7]
	s_add_u32 s6, s6, _ZN12_GLOBAL__N_17runRingIj10FuncMinMaxIjE7ProtoLLLi0ELi1ELi0EEEviiP15ncclDevWorkColl@rel32@lo+4
	s_addc_u32 s7, s7, _ZN12_GLOBAL__N_17runRingIj10FuncMinMaxIjE7ProtoLLLi0ELi1ELi0EEEviiP15ncclDevWorkColl@rel32@hi+12
	s_mov_b64 s[8:9], s[46:47]
	s_mov_b32 s12, s45
	s_swappc_b64 s[30:31], s[6:7]
	s_branch .LBB1_7
.LBB1_13:
	s_inst_prefetch 0x2
	s_clause 0x1
	buffer_load_dword v41, off, s[0:3], s33
	buffer_load_dword v40, off, s[0:3], s33 offset:4
	v_readlane_b32 s30, v42, 0
	v_readlane_b32 s31, v42, 1
	s_mov_b32 s32, s33
	s_or_saveexec_b32 s4, -1
	buffer_load_dword v42, off, s[0:3], s33 offset:8 ; 4-byte Folded Reload
	s_mov_b32 exec_lo, s4
	s_mov_b32 s33, s58
	s_waitcnt vmcnt(0)
	s_setpc_b64 s[30:31]
.Lfunc_end1:
	.size	_Z50ncclDevFunc_ReduceScatter_RING_LL_MinMax_u32_0_0_1v, .Lfunc_end1-_Z50ncclDevFunc_ReduceScatter_RING_LL_MinMax_u32_0_0_1v
                                        ; -- End function
	.set .L_Z50ncclDevFunc_ReduceScatter_RING_LL_MinMax_u32_0_0_1v.num_vgpr, max(43, .L_ZN12_GLOBAL__N_17runRingIj10FuncMinMaxIjE7ProtoLLLi0ELi1ELi0EEEviiP15ncclDevWorkColl.num_vgpr)
	.set .L_Z50ncclDevFunc_ReduceScatter_RING_LL_MinMax_u32_0_0_1v.num_agpr, max(0, .L_ZN12_GLOBAL__N_17runRingIj10FuncMinMaxIjE7ProtoLLLi0ELi1ELi0EEEviiP15ncclDevWorkColl.num_agpr)
	.set .L_Z50ncclDevFunc_ReduceScatter_RING_LL_MinMax_u32_0_0_1v.numbered_sgpr, max(59, .L_ZN12_GLOBAL__N_17runRingIj10FuncMinMaxIjE7ProtoLLLi0ELi1ELi0EEEviiP15ncclDevWorkColl.numbered_sgpr)
	.set .L_Z50ncclDevFunc_ReduceScatter_RING_LL_MinMax_u32_0_0_1v.num_named_barrier, max(0, .L_ZN12_GLOBAL__N_17runRingIj10FuncMinMaxIjE7ProtoLLLi0ELi1ELi0EEEviiP15ncclDevWorkColl.num_named_barrier)
	.set .L_Z50ncclDevFunc_ReduceScatter_RING_LL_MinMax_u32_0_0_1v.private_seg_size, 16+max(.L_ZN12_GLOBAL__N_17runRingIj10FuncMinMaxIjE7ProtoLLLi0ELi1ELi0EEEviiP15ncclDevWorkColl.private_seg_size)
	.set .L_Z50ncclDevFunc_ReduceScatter_RING_LL_MinMax_u32_0_0_1v.uses_vcc, or(1, .L_ZN12_GLOBAL__N_17runRingIj10FuncMinMaxIjE7ProtoLLLi0ELi1ELi0EEEviiP15ncclDevWorkColl.uses_vcc)
	.set .L_Z50ncclDevFunc_ReduceScatter_RING_LL_MinMax_u32_0_0_1v.uses_flat_scratch, or(0, .L_ZN12_GLOBAL__N_17runRingIj10FuncMinMaxIjE7ProtoLLLi0ELi1ELi0EEEviiP15ncclDevWorkColl.uses_flat_scratch)
	.set .L_Z50ncclDevFunc_ReduceScatter_RING_LL_MinMax_u32_0_0_1v.has_dyn_sized_stack, or(0, .L_ZN12_GLOBAL__N_17runRingIj10FuncMinMaxIjE7ProtoLLLi0ELi1ELi0EEEviiP15ncclDevWorkColl.has_dyn_sized_stack)
	.set .L_Z50ncclDevFunc_ReduceScatter_RING_LL_MinMax_u32_0_0_1v.has_recursion, or(1, .L_ZN12_GLOBAL__N_17runRingIj10FuncMinMaxIjE7ProtoLLLi0ELi1ELi0EEEviiP15ncclDevWorkColl.has_recursion)
	.set .L_Z50ncclDevFunc_ReduceScatter_RING_LL_MinMax_u32_0_0_1v.has_indirect_call, or(0, .L_ZN12_GLOBAL__N_17runRingIj10FuncMinMaxIjE7ProtoLLLi0ELi1ELi0EEEviiP15ncclDevWorkColl.has_indirect_call)
	.section	.AMDGPU.csdata,"",@progbits
; Function info:
; codeLenInByte = 644
; TotalNumSgprs: 61
; NumVgprs: 120
; ScratchSize: 104
; MemoryBound: 0
	.text
	.p2align	2                               ; -- Begin function _ZN12_GLOBAL__N_17runRingIj10FuncMinMaxIjE7ProtoLLLi0ELi2ELi0EEEviiP15ncclDevWorkColl
	.type	_ZN12_GLOBAL__N_17runRingIj10FuncMinMaxIjE7ProtoLLLi0ELi2ELi0EEEviiP15ncclDevWorkColl,@function
_ZN12_GLOBAL__N_17runRingIj10FuncMinMaxIjE7ProtoLLLi0ELi2ELi0EEEviiP15ncclDevWorkColl: ; @_ZN12_GLOBAL__N_17runRingIj10FuncMinMaxIjE7ProtoLLLi0ELi2ELi0EEEviiP15ncclDevWorkColl
; %bb.0:
	s_waitcnt vmcnt(0) expcnt(0) lgkmcnt(0)
	buffer_store_dword v40, off, s[0:3], s32 offset:80 ; 4-byte Folded Spill
	buffer_store_dword v41, off, s[0:3], s32 offset:76 ; 4-byte Folded Spill
	;; [unrolled: 1-line block ×20, first 2 shown]
	buffer_store_dword v76, off, s[0:3], s32 ; 4-byte Folded Spill
	s_trap 2
	s_clause 0x2
	flat_load_dword v10, v[2:3]
	flat_load_dwordx4 v[5:8], v[2:3] offset:72
	flat_load_dwordx2 v[20:21], v[2:3] offset:88
	v_mov_b32_e32 v4, v0
                                        ; implicit-def: $vgpr18_vgpr19
                                        ; implicit-def: $vgpr26_vgpr27
	s_waitcnt vmcnt(2) lgkmcnt(2)
	v_not_b32_sdwa v0, v10 dst_sel:DWORD dst_unused:UNUSED_PAD src0_sel:BYTE_0
	ds_read_b32 v9, v0
	ds_read_b64 v[24:25], v0
	v_add_nc_u32_sdwa v11, v10, v0 dst_sel:DWORD dst_unused:UNUSED_PAD src0_sel:BYTE_1 src1_sel:DWORD
	v_ashrrev_i32_e32 v12, 31, v11
	s_waitcnt vmcnt(1) lgkmcnt(3)
	v_mul_lo_u32 v13, v8, v11
	v_mad_u64_u32 v[66:67], null, v7, v11, 0
	v_mul_lo_u32 v11, v7, v12
	v_add3_u32 v67, v67, v11, v13
	s_waitcnt lgkmcnt(1)
	v_readfirstlane_b32 s14, v9
	v_cmp_ne_u32_sdwa s4, v9, v10 src0_sel:DWORD src1_sel:BYTE_0
	s_and_saveexec_b32 s5, s4
	s_xor_b32 s4, exec_lo, s5
	s_cbranch_execz .LBB2_6
; %bb.1:
	v_cmp_ne_u32_sdwa s5, v9, v10 src0_sel:DWORD src1_sel:BYTE_1
                                        ; implicit-def: $vgpr18_vgpr19
                                        ; implicit-def: $vgpr26_vgpr27
	s_and_saveexec_b32 s6, s5
	s_xor_b32 s5, exec_lo, s6
	s_cbranch_execz .LBB2_3
; %bb.2:
	flat_load_dwordx2 v[10:11], v[2:3] offset:96
	v_add_nc_u32_e32 v0, v9, v0
	v_ashrrev_i32_e32 v9, 31, v0
	v_mul_lo_u32 v12, v8, v0
	v_mad_u64_u32 v[26:27], null, v7, v0, v[5:6]
	v_mul_lo_u32 v9, v7, v9
	v_add3_u32 v27, v12, v27, v9
	s_waitcnt vmcnt(0) lgkmcnt(0)
	v_lshrrev_b64 v[18:19], 19, v[10:11]
.LBB2_3:
	s_andn2_saveexec_b32 s5, s5
	s_cbranch_execz .LBB2_5
; %bb.4:
	flat_load_dword v0, v[2:3] offset:100
	v_add_co_u32 v26, vcc_lo, v66, v5
	s_waitcnt vmcnt(1)
	v_mov_b32_e32 v7, v20
	v_add_co_ci_u32_e64 v27, null, v67, v6, vcc_lo
	v_mov_b32_e32 v8, v21
	s_waitcnt vmcnt(0) lgkmcnt(0)
	v_lshrrev_b32_e32 v18, 8, v0
.LBB2_5:
	s_or_b32 exec_lo, exec_lo, s5
.LBB2_6:
	s_andn2_saveexec_b32 s4, s4
	s_cbranch_execz .LBB2_8
; %bb.7:
	flat_load_dwordx2 v[7:8], v[2:3] offset:96
	v_mov_b32_e32 v26, 0
	v_mov_b32_e32 v27, 0
	s_waitcnt vmcnt(0) lgkmcnt(0)
	v_lshlrev_b64 v[18:19], 2, v[7:8]
	v_mov_b32_e32 v8, v6
	v_mov_b32_e32 v7, v5
.LBB2_8:
	s_or_b32 exec_lo, exec_lo, s4
	s_load_dword s4, s[8:9], 0x0
	v_mov_b32_e32 v14, 0
	s_clause 0x2
	flat_load_dwordx2 v[28:29], v[2:3] offset:104
	flat_load_ushort v16, v[2:3] offset:8
	flat_load_dword v15, v[2:3] offset:4
	v_and_b32_e32 v17, 31, v4
	s_waitcnt vmcnt(2) lgkmcnt(0)
	v_mov_b32_e32 v29, 0
	v_mov_b32_e32 v30, 0
	s_mov_b32 s6, 0
	s_cmp_lt_u32 s12, s4
	s_cselect_b32 s4, 12, 18
	s_add_u32 s4, s8, s4
	s_addc_u32 s5, s9, 0
	flat_load_dwordx4 v[9:12], v[2:3] offset:16
	global_load_ushort v0, v14, s[4:5]
	s_trap 2
	v_cmp_eq_u32_e64 s4, 0, v17
	s_waitcnt vmcnt(2)
	v_lshrrev_b64 v[2:3], 31, v[15:16]
	v_and_b32_e32 v2, 3, v2
	v_and_b32_e32 v15, 0xffff, v2
	s_waitcnt vmcnt(0)
	ds_read_b32 v13, v0
	s_waitcnt lgkmcnt(0)
	v_cmp_gt_i32_e32 vcc_lo, 0, v13
	v_readfirstlane_b32 s5, v13
	s_cbranch_vccnz .LBB2_10
; %bb.9:
	s_trap 2
	ds_read_b64 v[2:3], v0
	v_lshlrev_b64 v[13:14], 3, v[13:14]
	s_mov_b32 s6, 1
	s_waitcnt lgkmcnt(0)
	v_add_co_u32 v2, vcc_lo, v2, v13
	v_add_co_ci_u32_e64 v3, null, v3, v14, vcc_lo
	flat_load_dwordx2 v[2:3], v[2:3]
	s_waitcnt vmcnt(0) lgkmcnt(0)
	v_mad_u64_u32 v[2:3], null, 0xa8, v15, v[2:3]
	s_clause 0x1
	flat_load_dwordx2 v[34:35], v[2:3] offset:504
	flat_load_dwordx2 v[36:37], v[2:3] offset:608
	v_add_co_u32 v32, vcc_lo, 0x1f8, v2
	v_add_co_ci_u32_e64 v33, null, 0, v3, vcc_lo
	v_cndmask_b32_e64 v2, 0, v32, s4
	v_cndmask_b32_e64 v3, 0, v33, s4
	s_branch .LBB2_11
.LBB2_10:
	v_mov_b32_e32 v32, 0
	v_mov_b32_e32 v2, 0
	;; [unrolled: 1-line block ×4, first 2 shown]
                                        ; implicit-def: $vgpr36_vgpr37
                                        ; implicit-def: $vgpr34_vgpr35
.LBB2_11:
	s_trap 2
	ds_read_b32 v13, v0
	s_waitcnt lgkmcnt(0)
	v_cmp_gt_i32_e32 vcc_lo, 0, v13
	s_cbranch_vccnz .LBB2_13
; %bb.12:
	s_trap 2
	ds_read_b64 v[22:23], v0
	v_mov_b32_e32 v14, 0
	v_lshlrev_b64 v[13:14], 3, v[13:14]
	s_waitcnt lgkmcnt(0)
	v_add_co_u32 v13, vcc_lo, v22, v13
	v_add_co_ci_u32_e64 v14, null, v23, v14, vcc_lo
	v_cmp_eq_u32_e32 vcc_lo, 0, v17
	flat_load_dwordx2 v[13:14], v[13:14]
	s_waitcnt vmcnt(0) lgkmcnt(0)
	v_mad_u64_u32 v[29:30], null, 0xa8, v15, v[13:14]
	s_clause 0x1
	flat_load_dwordx2 v[38:39], v[29:30]
	flat_load_dwordx2 v[22:23], v[29:30] offset:104
	v_cndmask_b32_e32 v16, 0, v30, vcc_lo
	v_cndmask_b32_e32 v15, 0, v29, vcc_lo
	s_branch .LBB2_14
.LBB2_13:
	v_mov_b32_e32 v15, 0
	v_mov_b32_e32 v16, 0
                                        ; implicit-def: $vgpr22_vgpr23
                                        ; implicit-def: $vgpr38_vgpr39
.LBB2_14:
	v_subrev_nc_u32_e32 v13, 32, v1
	v_cmp_gt_u32_e32 vcc_lo, s6, v17
	v_mov_b32_e32 v50, 0
	v_mov_b32_e32 v51, 0
                                        ; implicit-def: $vgpr48_vgpr49
	v_cmp_ge_i32_e64 s4, v4, v13
	v_mov_b32_e32 v13, 0
	v_mov_b32_e32 v14, 0
	s_and_b32 s16, s4, vcc_lo
	s_and_saveexec_b32 s4, s16
	s_cbranch_execz .LBB2_16
; %bb.15:
	s_clause 0x1
	flat_load_dwordx2 v[50:51], v[2:3] offset:56
	flat_load_dwordx2 v[48:49], v[2:3] offset:104
.LBB2_16:
	s_or_b32 exec_lo, exec_lo, s4
	v_mov_b32_e32 v52, 0
	v_mov_b32_e32 v53, 0
	v_cmp_gt_u32_e64 s4, s6, v4
                                        ; implicit-def: $vgpr54_vgpr55
	s_and_saveexec_b32 s6, s4
	s_cbranch_execz .LBB2_18
; %bb.17:
	flat_load_dwordx2 v[52:53], v[15:16] offset:56
	s_waitcnt vmcnt(0) lgkmcnt(0)
	flat_load_dwordx2 v[54:55], v[52:53] glc dlc
	s_waitcnt vmcnt(0)
	flat_load_dwordx4 v[13:16], v[15:16] offset:96
.LBB2_18:
	s_or_b32 exec_lo, exec_lo, s6
	v_mov_b32_e32 v2, 0
	v_mov_b32_e32 v3, 0
	s_mov_b32 s17, exec_lo
	v_cmpx_ne_u64_e32 0, v[7:8]
	s_cbranch_execnz .LBB2_34
; %bb.19:
	s_or_b32 exec_lo, exec_lo, s17
	s_and_saveexec_b32 s5, s16
	s_cbranch_execnz .LBB2_206
.LBB2_20:
	s_or_b32 exec_lo, exec_lo, s5
	s_and_saveexec_b32 s5, s4
	s_cbranch_execz .LBB2_22
.LBB2_21:
	s_waitcnt vmcnt(0) lgkmcnt(0)
	flat_store_dwordx2 v[29:30], v[15:16] offset:104
.LBB2_22:
	s_or_b32 exec_lo, exec_lo, s5
	s_mov_b32 s4, exec_lo
	v_cmpx_ne_u32_e32 32, v1
	s_cbranch_execz .LBB2_213
; %bb.23:
	v_cmp_ne_u32_sdwa s5, v1, v0 src0_sel:DWORD src1_sel:WORD_0
	s_and_saveexec_b32 s6, s5
	s_xor_b32 s5, exec_lo, s6
	s_cbranch_execz .LBB2_211
; %bb.24:
	v_and_b32_e32 v0, 31, v31
	s_mov_b32 s6, exec_lo
	v_cmpx_eq_u32_e32 0, v0
	s_cbranch_execz .LBB2_210
; %bb.25:
	s_mov_b32 s8, exec_lo
	s_mov_b32 s7, exec_lo
	v_mbcnt_lo_u32_b32 v0, s8, 0
	s_waitcnt vmcnt(0) lgkmcnt(0)
	s_waitcnt_vscnt null, 0x0
	buffer_gl1_inv
	buffer_gl0_inv
	v_cmpx_eq_u32_e32 0, v0
	s_cbranch_execz .LBB2_27
; %bb.26:
	s_bcnt1_i32_b32 s8, s8
	v_mov_b32_e32 v5, 0
	v_mov_b32_e32 v4, s8
	ds_add_u64 v0, v[4:5]
	s_trap 2
.LBB2_27:
	s_or_b32 exec_lo, exec_lo, s7
	s_trap 2
	ds_read_b64 v[4:5], v0
	s_waitcnt lgkmcnt(0)
	buffer_gl0_inv
	v_lshrrev_b32_e32 v0, 5, v1
	s_mov_b32 s7, exec_lo
	v_add_co_u32 v0, vcc_lo, v2, v0
	v_add_co_ci_u32_e64 v1, null, 0, v3, vcc_lo
	v_cmpx_lt_u64_e64 v[4:5], v[0:1]
	s_cbranch_execz .LBB2_209
; %bb.28:
	s_mov_b32 s8, 0
	s_mov_b32 s11, 0
                                        ; implicit-def: $sgpr9
                                        ; implicit-def: $sgpr10
	s_inst_prefetch 0x1
	s_branch .LBB2_30
	.p2align	6
.LBB2_29:                               ;   in Loop: Header=BB2_30 Depth=1
	s_or_b32 exec_lo, exec_lo, s13
	s_and_b32 s12, exec_lo, s14
	s_or_b32 s8, s12, s8
	s_andn2_b32 s9, s9, exec_lo
	s_and_b32 s12, s10, exec_lo
	s_or_b32 s9, s9, s12
	s_andn2_b32 exec_lo, exec_lo, s8
	s_cbranch_execz .LBB2_207
.LBB2_30:                               ; =>This Inner Loop Header: Depth=1
	s_add_i32 s11, s11, 1
	s_cmpk_lg_i32 s11, 0x2710
	s_cselect_b32 s12, -1, 0
	s_and_b32 vcc_lo, exec_lo, s12
	s_cbranch_vccz .LBB2_32
; %bb.31:                               ;   in Loop: Header=BB2_30 Depth=1
	s_mov_b32 s14, -1
	s_or_b32 s10, s10, exec_lo
	s_and_saveexec_b32 s13, s12
	s_cbranch_execz .LBB2_29
	s_branch .LBB2_33
	.p2align	6
.LBB2_32:                               ;   in Loop: Header=BB2_30 Depth=1
	s_trap 2
	ds_read_b64 v[2:3], v0
	s_andn2_b32 s12, s12, exec_lo
	s_mov_b32 s11, 0
	s_waitcnt lgkmcnt(0)
	flat_load_dword v2, v[2:3] glc dlc
	s_waitcnt vmcnt(0) lgkmcnt(0)
	buffer_gl1_inv
	buffer_gl0_inv
	v_cmp_eq_u32_e32 vcc_lo, 0, v2
	s_and_b32 s13, vcc_lo, exec_lo
	s_or_b32 s12, s12, s13
	s_mov_b32 s14, -1
	s_or_b32 s10, s10, exec_lo
	s_and_saveexec_b32 s13, s12
	s_cbranch_execz .LBB2_29
.LBB2_33:                               ;   in Loop: Header=BB2_30 Depth=1
	s_sleep 1
	s_trap 2
	ds_read_b64 v[2:3], v0
	s_waitcnt lgkmcnt(0)
	buffer_gl0_inv
	s_andn2_b32 s10, s10, exec_lo
	v_cmp_ge_u64_e32 vcc_lo, v[2:3], v[0:1]
	s_orn2_b32 s14, vcc_lo, exec_lo
	s_branch .LBB2_29
.LBB2_34:
	s_ashr_i32 s6, s5, 31
	v_mov_b32_e32 v17, 0
	s_lshr_b32 s6, s6, 29
	s_ashr_i32 s15, s14, 31
	s_add_i32 s5, s5, s6
	v_add_co_u32 v2, vcc_lo, v20, v5
	s_lshl_b64 s[6:7], s[14:15], 2
	v_add_co_ci_u32_e64 v3, null, v21, v6, vcc_lo
	v_add_co_u32 v5, vcc_lo, v24, s6
	v_lshlrev_b32_e32 v80, 1, v4
	v_mov_b32_e32 v81, v17
	v_add_co_ci_u32_e64 v6, null, s7, v25, vcc_lo
	v_add_co_u32 v66, vcc_lo, v2, v66
	v_add_co_ci_u32_e64 v67, null, v3, v67, vcc_lo
	v_add_co_u32 v68, vcc_lo, v5, -4
	v_mov_b32_e32 v5, v17
	v_and_b32_e32 v2, 31, v31
	v_lshlrev_b64 v[81:82], 2, v[80:81]
	s_ashr_i32 s8, s5, 3
	v_lshlrev_b64 v[85:86], 2, v[26:27]
	v_lshlrev_b64 v[19:20], 3, v[4:5]
	s_and_b32 s15, s8, -16
	v_cmp_eq_u32_e64 s8, 0, v2
	v_and_b32_e32 v2, 3, v9
	v_mov_b32_e32 v3, v17
	v_add_co_ci_u32_e64 v69, null, -1, v6, vcc_lo
	v_add_co_u32 v116, vcc_lo, v11, v81
	v_add_co_ci_u32_e64 v117, null, v12, v82, vcc_lo
	v_add_co_u32 v118, vcc_lo, v9, v81
	v_add_co_ci_u32_e64 v119, null, v10, v82, vcc_lo
	v_cmp_eq_u64_e64 s10, 0, v[2:3]
	v_add_co_u32 v2, vcc_lo, v19, v85
	v_lshlrev_b64 v[9:10], 4, v[4:5]
	v_add_co_ci_u32_e64 v3, null, v20, v86, vcc_lo
	v_lshlrev_b32_e32 v6, 2, v18
	v_add_co_u32 v40, vcc_lo, v11, v2
	v_mov_b32_e32 v2, v17
	v_add_co_ci_u32_e64 v41, null, v12, v3, vcc_lo
	s_waitcnt vmcnt(1) lgkmcnt(1)
	v_add_co_u32 v43, vcc_lo, v38, v9
	s_ashr_i32 s18, s5, 7
	v_mov_b32_e32 v70, 0
	v_cmp_ne_u64_e64 s5, 0, v[52:53]
	s_waitcnt vmcnt(0) lgkmcnt(0)
	v_cmp_ne_u64_e64 s6, 0, v[13:14]
	v_cmp_ne_u64_e64 s9, 0, v[50:51]
	v_and_b32_e32 v42, 0x1fffff0, v6
	v_lshlrev_b64 v[5:6], 2, v[66:67]
	v_add_co_ci_u32_e64 v44, null, v39, v10, vcc_lo
	v_lshlrev_b64 v[9:10], 3, v[1:2]
	v_lshlrev_b64 v[85:86], 4, v[1:2]
	v_mov_b32_e32 v2, 0
	v_and_b32_e32 v64, 0x7ffffc, v18
	v_mov_b32_e32 v65, v17
	v_mov_b32_e32 v71, 0
	v_cmp_ne_u32_e64 s7, 32, v1
	v_cmp_ne_u32_sdwa s19, v1, v0 src0_sel:DWORD src1_sel:WORD_0
	v_lshrrev_b32_e32 v87, 5, v1
	v_lshlrev_b32_e32 v83, 1, v1
	v_mov_b32_e32 v84, v17
	v_mov_b32_e32 v45, 1
	;; [unrolled: 1-line block ×4, first 2 shown]
	s_cmp_gt_i32 s14, 2
	s_mov_b32 s13, 0
	s_cselect_b32 s21, -1, 0
	s_mov_b32 s20, 0
	s_branch .LBB2_36
.LBB2_35:                               ;   in Loop: Header=BB2_36 Depth=1
	s_or_b32 exec_lo, exec_lo, s11
	v_add_co_u32 v70, vcc_lo, v70, v64
	v_add_co_ci_u32_e64 v71, null, 0, v71, vcc_lo
	v_add_co_u32 v36, vcc_lo, v36, 1
	v_add_co_ci_u32_e64 v37, null, 0, v37, vcc_lo
	v_cmp_ge_u64_e32 vcc_lo, v[70:71], v[7:8]
	v_add_co_u32 v40, s11, v40, v42
	v_add_co_ci_u32_e64 v41, null, 0, v41, s11
	s_or_b32 s20, vcc_lo, s20
	s_andn2_b32 exec_lo, exec_lo, s20
	s_cbranch_execz .LBB2_205
.LBB2_36:                               ; =>This Loop Header: Depth=1
                                        ;     Child Loop BB2_41 Depth 2
                                        ;     Child Loop BB2_60 Depth 2
	;; [unrolled: 1-line block ×5, first 2 shown]
                                        ;       Child Loop BB2_88 Depth 3
                                        ;       Child Loop BB2_107 Depth 3
                                        ;       Child Loop BB2_129 Depth 3
                                        ;         Child Loop BB2_135 Depth 4
                                        ;       Child Loop BB2_149 Depth 3
                                        ;       Child Loop BB2_124 Depth 3
                                        ;     Child Loop BB2_165 Depth 2
                                        ;       Child Loop BB2_171 Depth 3
                                        ;     Child Loop BB2_193 Depth 2
	flat_load_dword v20, v[68:69]
	v_sub_co_u32 v18, vcc_lo, v7, v70
	v_sub_co_ci_u32_e64 v19, null, v8, v71, vcc_lo
	v_cmp_lt_u64_e32 vcc_lo, v[64:65], v[18:19]
	v_cndmask_b32_e32 v21, v18, v64, vcc_lo
	v_lshl_add_u32 v18, v21, 3, 8
	v_and_b32_e32 v47, 0x7fffff0, v18
	s_and_saveexec_b32 s12, s5
	s_cbranch_execz .LBB2_52
; %bb.37:                               ;   in Loop: Header=BB2_36 Depth=1
	v_add_co_u32 v18, vcc_lo, v15, 1
	v_add_co_ci_u32_e64 v19, null, 0, v16, vcc_lo
	v_add_co_u32 v96, vcc_lo, v54, 8
	v_add_co_ci_u32_e64 v97, null, 0, v55, vcc_lo
	s_mov_b32 s22, exec_lo
	v_cmpx_lt_u64_e64 v[96:97], v[18:19]
	s_cbranch_execz .LBB2_49
; %bb.38:                               ;   in Loop: Header=BB2_36 Depth=1
	s_mov_b32 s23, 0
	s_mov_b32 s27, 0
	v_cmp_eq_u32_e32 vcc_lo, 0, v46
                                        ; implicit-def: $sgpr24
                                        ; implicit-def: $sgpr25
                                        ; implicit-def: $sgpr26
	s_branch .LBB2_41
.LBB2_39:                               ;   in Loop: Header=BB2_41 Depth=2
	s_or_b32 exec_lo, exec_lo, s42
	s_andn2_b32 s11, s26, exec_lo
	s_and_b32 s26, s40, exec_lo
	s_andn2_b32 s25, s25, exec_lo
	s_and_b32 s29, s29, exec_lo
	s_or_b32 s26, s11, s26
	s_or_b32 s25, s25, s29
.LBB2_40:                               ;   in Loop: Header=BB2_41 Depth=2
	s_or_b32 exec_lo, exec_lo, s28
	s_and_b32 s11, exec_lo, s25
	s_or_b32 s23, s11, s23
	s_andn2_b32 s11, s24, exec_lo
	s_and_b32 s24, s26, exec_lo
	s_or_b32 s24, s11, s24
	s_andn2_b32 exec_lo, exec_lo, s23
	s_cbranch_execz .LBB2_46
.LBB2_41:                               ;   Parent Loop BB2_36 Depth=1
                                        ; =>  This Inner Loop Header: Depth=2
	s_sleep 1
	s_waitcnt vmcnt(0) lgkmcnt(0)
	flat_load_dwordx2 v[54:55], v[52:53] glc dlc
	v_mov_b32_e32 v46, 1
	s_or_b32 s26, s26, exec_lo
	s_or_b32 s25, s25, exec_lo
                                        ; implicit-def: $vgpr16
	s_and_saveexec_b32 s28, vcc_lo
	s_cbranch_execz .LBB2_40
; %bb.42:                               ;   in Loop: Header=BB2_41 Depth=2
	s_add_i32 s27, s27, 1
	s_mov_b32 s29, -1
	s_cmpk_lg_i32 s27, 0x2710
	s_mov_b32 s40, -1
	s_cselect_b32 s41, -1, 0
	s_cmpk_eq_i32 s27, 0x2710
                                        ; implicit-def: $vgpr16
	s_cbranch_scc1 .LBB2_44
; %bb.43:                               ;   in Loop: Header=BB2_41 Depth=2
	v_mov_b32_e32 v46, 1
	s_and_saveexec_b32 s42, s41
	s_cbranch_execz .LBB2_39
	s_branch .LBB2_45
.LBB2_44:                               ;   in Loop: Header=BB2_41 Depth=2
	s_trap 2
	ds_read_b64 v[96:97], v0
	s_andn2_b32 s27, s41, exec_lo
	s_mov_b32 s40, 0
	s_waitcnt vmcnt(0) lgkmcnt(0)
	s_waitcnt_vscnt null, 0x0
	flat_load_dword v16, v[96:97] glc dlc
	s_waitcnt vmcnt(0) lgkmcnt(0)
	buffer_gl1_inv
	buffer_gl0_inv
	v_cmp_eq_u32_e64 s11, 0, v16
	s_and_b32 s11, s11, exec_lo
	s_or_b32 s41, s27, s11
	s_mov_b32 s27, 0
	v_mov_b32_e32 v46, 1
	s_and_saveexec_b32 s42, s41
	s_cbranch_execz .LBB2_39
.LBB2_45:                               ;   in Loop: Header=BB2_41 Depth=2
	s_waitcnt vmcnt(0) lgkmcnt(0)
	v_add_co_u32 v96, s11, v54, 8
	v_add_co_ci_u32_e64 v97, null, 0, v55, s11
	v_mov_b32_e32 v46, 0
	s_or_b32 s40, s40, exec_lo
	v_cmp_ge_u64_e64 s11, v[96:97], v[18:19]
	s_orn2_b32 s29, s11, exec_lo
	s_branch .LBB2_39
.LBB2_46:                               ;   in Loop: Header=BB2_36 Depth=1
	s_or_b32 exec_lo, exec_lo, s23
	s_xor_b32 s11, s24, -1
	s_and_saveexec_b32 s23, s11
	s_xor_b32 s11, exec_lo, s23
	s_cbranch_execz .LBB2_48
; %bb.47:                               ;   in Loop: Header=BB2_36 Depth=1
	v_mov_b32_e32 v46, 1
	s_waitcnt vmcnt(0) lgkmcnt(0)
	s_waitcnt_vscnt null, 0x0
	ds_write_b32 v0, v16
	s_trap 2
.LBB2_48:                               ;   in Loop: Header=BB2_36 Depth=1
	s_or_b32 exec_lo, exec_lo, s11
.LBB2_49:                               ;   in Loop: Header=BB2_36 Depth=1
	s_or_b32 exec_lo, exec_lo, s22
	s_and_saveexec_b32 s11, s6
	s_cbranch_execz .LBB2_51
; %bb.50:                               ;   in Loop: Header=BB2_36 Depth=1
	v_and_b32_e32 v96, 0x7ffffff8, v15
	v_mov_b32_e32 v97, v17
	v_and_b32_e32 v16, 7, v15
	v_cmp_eq_u64_e32 vcc_lo, 0x7ffffff8, v[96:97]
	v_mad_u64_u32 v[96:97], null, v16, 24, v[13:14]
	v_cndmask_b32_e64 v15, v47, s15, vcc_lo
	v_ashrrev_i32_e32 v16, 31, v15
	flat_store_dwordx2 v[96:97], v[15:16] offset:8
	s_waitcnt_vscnt null, 0x0
.LBB2_51:                               ;   in Loop: Header=BB2_36 Depth=1
	s_or_b32 exec_lo, exec_lo, s11
	v_mov_b32_e32 v15, v18
	v_mov_b32_e32 v16, v19
.LBB2_52:                               ;   in Loop: Header=BB2_36 Depth=1
	s_or_b32 exec_lo, exec_lo, s12
	s_and_saveexec_b32 s11, s7
	s_cbranch_execz .LBB2_71
; %bb.53:                               ;   in Loop: Header=BB2_36 Depth=1
	s_and_saveexec_b32 s12, s19
	s_xor_b32 s12, exec_lo, s12
	s_cbranch_execz .LBB2_68
; %bb.54:                               ;   in Loop: Header=BB2_36 Depth=1
	s_and_saveexec_b32 s22, s8
	s_cbranch_execz .LBB2_67
; %bb.55:                               ;   in Loop: Header=BB2_36 Depth=1
	s_mov_b32 s24, exec_lo
	s_mov_b32 s23, exec_lo
	v_mbcnt_lo_u32_b32 v18, s24, 0
	s_waitcnt vmcnt(0) lgkmcnt(0)
	s_waitcnt_vscnt null, 0x0
	buffer_gl1_inv
	buffer_gl0_inv
	v_cmpx_eq_u32_e32 0, v18
	s_cbranch_execz .LBB2_57
; %bb.56:                               ;   in Loop: Header=BB2_36 Depth=1
	s_bcnt1_i32_b32 s24, s24
	v_mov_b32_e32 v19, v17
	v_mov_b32_e32 v18, s24
	ds_add_u64 v0, v[18:19]
	s_trap 2
.LBB2_57:                               ;   in Loop: Header=BB2_36 Depth=1
	s_or_b32 exec_lo, exec_lo, s23
	s_trap 2
	ds_read_b64 v[18:19], v0
	s_waitcnt lgkmcnt(0)
	buffer_gl0_inv
	v_add_co_u32 v2, vcc_lo, v2, v87
	v_add_co_ci_u32_e64 v3, null, 0, v3, vcc_lo
	s_mov_b32 s23, exec_lo
	v_cmpx_lt_u64_e64 v[18:19], v[2:3]
	s_cbranch_execz .LBB2_66
; %bb.58:                               ;   in Loop: Header=BB2_36 Depth=1
	s_mov_b32 s24, 0
	s_mov_b32 s27, 0
                                        ; implicit-def: $sgpr25
                                        ; implicit-def: $sgpr26
	s_inst_prefetch 0x1
	s_branch .LBB2_60
	.p2align	6
.LBB2_59:                               ;   in Loop: Header=BB2_60 Depth=2
	s_or_b32 exec_lo, exec_lo, s29
	s_and_b32 s28, exec_lo, s40
	s_or_b32 s24, s28, s24
	s_andn2_b32 s25, s25, exec_lo
	s_and_b32 s28, s26, exec_lo
	s_or_b32 s25, s25, s28
	s_andn2_b32 exec_lo, exec_lo, s24
	s_cbranch_execz .LBB2_64
.LBB2_60:                               ;   Parent Loop BB2_36 Depth=1
                                        ; =>  This Inner Loop Header: Depth=2
	s_add_i32 s27, s27, 1
	s_cmpk_lg_i32 s27, 0x2710
	s_cselect_b32 s28, -1, 0
	s_and_b32 vcc_lo, exec_lo, s28
	s_cbranch_vccz .LBB2_62
; %bb.61:                               ;   in Loop: Header=BB2_60 Depth=2
	s_mov_b32 s40, -1
	s_or_b32 s26, s26, exec_lo
	s_and_saveexec_b32 s29, s28
	s_cbranch_execz .LBB2_59
	s_branch .LBB2_63
	.p2align	6
.LBB2_62:                               ;   in Loop: Header=BB2_60 Depth=2
	s_trap 2
	ds_read_b64 v[18:19], v0
	s_andn2_b32 s28, s28, exec_lo
	s_mov_b32 s27, 0
	s_waitcnt lgkmcnt(0)
	flat_load_dword v18, v[18:19] glc dlc
	s_waitcnt vmcnt(0) lgkmcnt(0)
	buffer_gl1_inv
	buffer_gl0_inv
	v_cmp_eq_u32_e32 vcc_lo, 0, v18
	s_and_b32 s29, vcc_lo, exec_lo
	s_or_b32 s28, s28, s29
	s_mov_b32 s40, -1
	s_or_b32 s26, s26, exec_lo
	s_and_saveexec_b32 s29, s28
	s_cbranch_execz .LBB2_59
.LBB2_63:                               ;   in Loop: Header=BB2_60 Depth=2
	s_sleep 1
	s_trap 2
	ds_read_b64 v[18:19], v0
	s_waitcnt lgkmcnt(0)
	buffer_gl0_inv
	s_andn2_b32 s26, s26, exec_lo
	v_cmp_ge_u64_e32 vcc_lo, v[18:19], v[2:3]
	s_orn2_b32 s40, vcc_lo, exec_lo
	s_branch .LBB2_59
.LBB2_64:                               ;   in Loop: Header=BB2_36 Depth=1
	s_inst_prefetch 0x2
	s_or_b32 exec_lo, exec_lo, s24
	s_and_saveexec_b32 s24, s25
	s_xor_b32 s24, exec_lo, s24
	s_cbranch_execz .LBB2_66
; %bb.65:                               ;   in Loop: Header=BB2_36 Depth=1
	ds_write_b32 v0, v45
	s_trap 2
.LBB2_66:                               ;   in Loop: Header=BB2_36 Depth=1
	s_or_b32 exec_lo, exec_lo, s23
	;;#ASMSTART
	s_wakeup
	;;#ASMEND
.LBB2_67:                               ;   in Loop: Header=BB2_36 Depth=1
	s_or_b32 exec_lo, exec_lo, s22
.LBB2_68:                               ;   in Loop: Header=BB2_36 Depth=1
	s_andn2_saveexec_b32 s12, s12
	s_cbranch_execz .LBB2_70
; %bb.69:                               ;   in Loop: Header=BB2_36 Depth=1
	s_waitcnt vmcnt(0) lgkmcnt(0)
	s_waitcnt_vscnt null, 0x0
	buffer_gl1_inv
	buffer_gl0_inv
	s_barrier
.LBB2_70:                               ;   in Loop: Header=BB2_36 Depth=1
	s_or_b32 exec_lo, exec_lo, s12
.LBB2_71:                               ;   in Loop: Header=BB2_36 Depth=1
	s_or_b32 exec_lo, exec_lo, s11
	v_sub_nc_u32_e32 v56, v21, v80
	v_and_b32_e32 v101, 7, v22
	v_add_nc_u32_e32 v19, 1, v22
	v_mov_b32_e32 v96, v4
	v_cmp_lt_i32_e64 s11, 0, v56
	s_and_saveexec_b32 s22, s11
	s_cbranch_execz .LBB2_77
; %bb.72:                               ;   in Loop: Header=BB2_36 Depth=1
	v_mul_lo_u32 v99, v101, s18
	s_waitcnt vmcnt(0) lgkmcnt(0)
	v_ashrrev_i32_e32 v18, 31, v20
	v_mul_lo_u32 v96, v6, v20
	v_mad_u64_u32 v[97:98], null, v5, v20, 0
	v_mov_b32_e32 v102, v56
	v_mul_lo_u32 v18, v5, v18
	s_mov_b32 s23, 0
	v_ashrrev_i32_e32 v100, 31, v99
                                        ; implicit-def: $vgpr103
	v_lshlrev_b64 v[20:21], 4, v[99:100]
	v_add3_u32 v98, v98, v18, v96
	v_mov_b32_e32 v96, v4
	v_add_co_u32 v99, vcc_lo, v43, v20
	v_add_co_ci_u32_e64 v100, null, v44, v21, vcc_lo
	s_inst_prefetch 0x1
	s_branch .LBB2_74
	.p2align	6
.LBB2_73:                               ;   in Loop: Header=BB2_74 Depth=2
	s_or_b32 exec_lo, exec_lo, s12
	s_waitcnt vmcnt(0)
	v_mov_b32_e32 v20, v103
	v_mov_b32_e32 v21, v19
	v_sub_nc_u32_e32 v102, v102, v83
	v_add_co_u32 v97, vcc_lo, v97, v9
	v_add_co_ci_u32_e64 v98, null, v98, v10, vcc_lo
	global_store_dwordx4 v[99:100], v[18:21], off
	v_cmp_gt_i32_e32 vcc_lo, 1, v102
	v_add_co_u32 v99, s12, v99, v85
	v_add_nc_u32_e32 v96, v96, v1
	v_add_co_ci_u32_e64 v100, null, v100, v86, s12
	s_or_b32 s23, vcc_lo, s23
	s_andn2_b32 exec_lo, exec_lo, s23
	s_cbranch_execz .LBB2_76
.LBB2_74:                               ;   Parent Loop BB2_36 Depth=1
                                        ; =>  This Inner Loop Header: Depth=2
	v_add_co_u32 v20, vcc_lo, v40, v97
	v_add_co_ci_u32_e64 v21, null, v41, v98, vcc_lo
	s_mov_b32 s12, exec_lo
	global_load_dword v18, v[20:21], off slc
	v_cmpx_ne_u32_e32 1, v102
	s_cbranch_execz .LBB2_73
; %bb.75:                               ;   in Loop: Header=BB2_74 Depth=2
	global_load_dword v103, v[20:21], off offset:4 slc
	s_branch .LBB2_73
.LBB2_76:                               ;   in Loop: Header=BB2_36 Depth=1
	s_inst_prefetch 0x2
	s_or_b32 exec_lo, exec_lo, s23
.LBB2_77:                               ;   in Loop: Header=BB2_36 Depth=1
	s_or_b32 exec_lo, exec_lo, s22
	s_waitcnt vmcnt(0) lgkmcnt(0)
	v_and_b32_e32 v20, 0x7ffffff8, v22
	v_mov_b32_e32 v21, v17
	v_cmp_gt_i32_e64 s12, s18, v96
	v_cmp_eq_u64_e32 vcc_lo, 0x7ffffff8, v[20:21]
	s_and_b32 s12, vcc_lo, s12
	s_and_saveexec_b32 s22, s12
	s_cbranch_execz .LBB2_80
; %bb.78:                               ;   in Loop: Header=BB2_36 Depth=1
	v_mul_lo_u32 v20, v101, s18
	v_ashrrev_i32_e32 v97, 31, v96
	v_mov_b32_e32 v18, v19
	s_mov_b32 s23, 0
	v_lshlrev_b64 v[97:98], 4, v[96:97]
	v_ashrrev_i32_e32 v21, 31, v20
	v_lshlrev_b64 v[20:21], 4, v[20:21]
	v_add_co_u32 v20, vcc_lo, v97, v20
	v_add_co_ci_u32_e64 v21, null, v98, v21, vcc_lo
	v_add_co_u32 v97, vcc_lo, v38, v20
	v_add_co_ci_u32_e64 v98, null, v39, v21, vcc_lo
.LBB2_79:                               ;   Parent Loop BB2_36 Depth=1
                                        ; =>  This Inner Loop Header: Depth=2
	v_mov_b32_e32 v19, v17
	v_add_nc_u32_e32 v96, v96, v1
	v_mov_b32_e32 v20, v18
	v_cmp_le_i32_e32 vcc_lo, s18, v96
	global_store_dwordx4 v[97:98], v[17:20], off
	v_add_co_u32 v97, s12, v97, v85
	v_add_co_ci_u32_e64 v98, null, v98, v86, s12
	s_or_b32 s23, vcc_lo, s23
	s_andn2_b32 exec_lo, exec_lo, s23
	s_cbranch_execnz .LBB2_79
.LBB2_80:                               ;   in Loop: Header=BB2_36 Depth=1
	s_or_b32 exec_lo, exec_lo, s22
	v_add_co_u32 v18, vcc_lo, v70, v26
	v_add_co_ci_u32_e64 v19, null, v71, v27, vcc_lo
	v_add_co_u32 v98, vcc_lo, v22, 1
	v_add_co_ci_u32_e64 v99, null, 0, v23, vcc_lo
	v_lshlrev_b64 v[96:97], 2, v[18:19]
	s_andn2_b32 vcc_lo, exec_lo, s21
	s_cbranch_vccnz .LBB2_160
; %bb.81:                               ;   in Loop: Header=BB2_36 Depth=1
	v_add_co_u32 v57, vcc_lo, v116, v96
	v_add_co_ci_u32_e64 v58, null, v117, v97, vcc_lo
	v_add_nc_u16 v59, v22, 1
	s_mov_b32 s22, 2
	s_branch .LBB2_83
.LBB2_82:                               ;   in Loop: Header=BB2_83 Depth=2
	s_or_b32 exec_lo, exec_lo, s23
	v_add_co_u32 v36, vcc_lo, v36, 1
	v_add_co_ci_u32_e64 v37, null, 0, v37, vcc_lo
	v_add_co_u32 v98, vcc_lo, v98, 1
	v_add_co_ci_u32_e64 v99, null, 0, v99, vcc_lo
	v_add_nc_u16 v59, v59, 1
	s_add_i32 s22, s22, 1
	s_cmp_eq_u32 s22, s14
	s_cbranch_scc1 .LBB2_160
.LBB2_83:                               ;   Parent Loop BB2_36 Depth=1
                                        ; =>  This Loop Header: Depth=2
                                        ;       Child Loop BB2_88 Depth 3
                                        ;       Child Loop BB2_107 Depth 3
	;; [unrolled: 1-line block ×3, first 2 shown]
                                        ;         Child Loop BB2_135 Depth 4
                                        ;       Child Loop BB2_149 Depth 3
                                        ;       Child Loop BB2_124 Depth 3
	s_sub_i32 s12, s14, s22
	s_lshl_b64 s[24:25], s[12:13], 2
	v_add_co_u32 v18, vcc_lo, v24, s24
	v_add_co_ci_u32_e64 v19, null, s25, v25, vcc_lo
	flat_load_dword v20, v[18:19]
	s_and_saveexec_b32 s23, s5
	s_cbranch_execz .LBB2_99
; %bb.84:                               ;   in Loop: Header=BB2_83 Depth=2
	v_add_co_u32 v18, vcc_lo, v15, 1
	v_add_co_ci_u32_e64 v19, null, 0, v16, vcc_lo
	v_add_co_u32 v21, vcc_lo, v54, 8
	v_add_co_ci_u32_e64 v22, null, 0, v55, vcc_lo
	s_mov_b32 s24, exec_lo
	v_cmpx_lt_u64_e64 v[21:22], v[18:19]
	s_cbranch_execz .LBB2_96
; %bb.85:                               ;   in Loop: Header=BB2_83 Depth=2
	s_mov_b32 s25, 0
	s_mov_b32 s29, 0
	v_cmp_eq_u32_e32 vcc_lo, 0, v46
                                        ; implicit-def: $sgpr26
                                        ; implicit-def: $sgpr27
                                        ; implicit-def: $sgpr28
	s_branch .LBB2_88
.LBB2_86:                               ;   in Loop: Header=BB2_88 Depth=3
	s_or_b32 exec_lo, exec_lo, s44
	s_andn2_b32 s12, s28, exec_lo
	s_and_b32 s28, s42, exec_lo
	s_andn2_b32 s27, s27, exec_lo
	s_and_b32 s41, s41, exec_lo
	s_or_b32 s28, s12, s28
	s_or_b32 s27, s27, s41
.LBB2_87:                               ;   in Loop: Header=BB2_88 Depth=3
	s_or_b32 exec_lo, exec_lo, s40
	s_and_b32 s12, exec_lo, s27
	s_or_b32 s25, s12, s25
	s_andn2_b32 s12, s26, exec_lo
	s_and_b32 s26, s28, exec_lo
	s_or_b32 s26, s12, s26
	s_andn2_b32 exec_lo, exec_lo, s25
	s_cbranch_execz .LBB2_93
.LBB2_88:                               ;   Parent Loop BB2_36 Depth=1
                                        ;     Parent Loop BB2_83 Depth=2
                                        ; =>    This Inner Loop Header: Depth=3
	s_sleep 1
	s_waitcnt vmcnt(0) lgkmcnt(0)
	flat_load_dwordx2 v[54:55], v[52:53] glc dlc
	v_mov_b32_e32 v46, 1
	s_or_b32 s28, s28, exec_lo
	s_or_b32 s27, s27, exec_lo
                                        ; implicit-def: $vgpr16
	s_and_saveexec_b32 s40, vcc_lo
	s_cbranch_execz .LBB2_87
; %bb.89:                               ;   in Loop: Header=BB2_88 Depth=3
	s_add_i32 s29, s29, 1
	s_mov_b32 s41, -1
	s_cmpk_lg_i32 s29, 0x2710
	s_mov_b32 s42, -1
	s_cselect_b32 s43, -1, 0
	s_cmpk_eq_i32 s29, 0x2710
                                        ; implicit-def: $vgpr16
	s_cbranch_scc1 .LBB2_91
; %bb.90:                               ;   in Loop: Header=BB2_88 Depth=3
	v_mov_b32_e32 v46, 1
	s_and_saveexec_b32 s44, s43
	s_cbranch_execz .LBB2_86
	s_branch .LBB2_92
.LBB2_91:                               ;   in Loop: Header=BB2_88 Depth=3
	s_trap 2
	ds_read_b64 v[21:22], v0
	s_andn2_b32 s29, s43, exec_lo
	s_mov_b32 s42, 0
	s_waitcnt vmcnt(0) lgkmcnt(0)
	s_waitcnt_vscnt null, 0x0
	flat_load_dword v16, v[21:22] glc dlc
	s_waitcnt vmcnt(0) lgkmcnt(0)
	buffer_gl1_inv
	buffer_gl0_inv
	v_cmp_eq_u32_e64 s12, 0, v16
	s_and_b32 s12, s12, exec_lo
	s_or_b32 s43, s29, s12
	s_mov_b32 s29, 0
	v_mov_b32_e32 v46, 1
	s_and_saveexec_b32 s44, s43
	s_cbranch_execz .LBB2_86
.LBB2_92:                               ;   in Loop: Header=BB2_88 Depth=3
	s_waitcnt vmcnt(0) lgkmcnt(0)
	v_add_co_u32 v21, s12, v54, 8
	v_add_co_ci_u32_e64 v22, null, 0, v55, s12
	v_mov_b32_e32 v46, 0
	s_or_b32 s42, s42, exec_lo
	v_cmp_ge_u64_e64 s12, v[21:22], v[18:19]
	s_orn2_b32 s41, s12, exec_lo
	s_branch .LBB2_86
.LBB2_93:                               ;   in Loop: Header=BB2_83 Depth=2
	s_or_b32 exec_lo, exec_lo, s25
	s_xor_b32 s12, s26, -1
	s_and_saveexec_b32 s25, s12
	s_xor_b32 s12, exec_lo, s25
	s_cbranch_execz .LBB2_95
; %bb.94:                               ;   in Loop: Header=BB2_83 Depth=2
	v_mov_b32_e32 v46, 1
	s_waitcnt vmcnt(0) lgkmcnt(0)
	s_waitcnt_vscnt null, 0x0
	ds_write_b32 v0, v16
	s_trap 2
.LBB2_95:                               ;   in Loop: Header=BB2_83 Depth=2
	s_or_b32 exec_lo, exec_lo, s12
.LBB2_96:                               ;   in Loop: Header=BB2_83 Depth=2
	s_or_b32 exec_lo, exec_lo, s24
	s_and_saveexec_b32 s12, s6
	s_cbranch_execz .LBB2_98
; %bb.97:                               ;   in Loop: Header=BB2_83 Depth=2
	v_and_b32_e32 v21, 0x7ffffff8, v15
	v_mov_b32_e32 v22, v17
	v_and_b32_e32 v16, 7, v15
	v_cmp_eq_u64_e32 vcc_lo, 0x7ffffff8, v[21:22]
	v_mad_u64_u32 v[21:22], null, v16, 24, v[13:14]
	v_cndmask_b32_e64 v15, v47, s15, vcc_lo
	v_ashrrev_i32_e32 v16, 31, v15
	flat_store_dwordx2 v[21:22], v[15:16] offset:8
	s_waitcnt_vscnt null, 0x0
.LBB2_98:                               ;   in Loop: Header=BB2_83 Depth=2
	s_or_b32 exec_lo, exec_lo, s12
	v_mov_b32_e32 v15, v18
	v_mov_b32_e32 v16, v19
.LBB2_99:                               ;   in Loop: Header=BB2_83 Depth=2
	s_or_b32 exec_lo, exec_lo, s23
	s_and_saveexec_b32 s12, s7
	s_cbranch_execz .LBB2_118
; %bb.100:                              ;   in Loop: Header=BB2_83 Depth=2
	s_and_saveexec_b32 s23, s19
	s_xor_b32 s23, exec_lo, s23
	s_cbranch_execz .LBB2_115
; %bb.101:                              ;   in Loop: Header=BB2_83 Depth=2
	s_and_saveexec_b32 s24, s8
	s_cbranch_execz .LBB2_114
; %bb.102:                              ;   in Loop: Header=BB2_83 Depth=2
	s_mov_b32 s26, exec_lo
	s_mov_b32 s25, exec_lo
	v_mbcnt_lo_u32_b32 v18, s26, 0
	s_waitcnt vmcnt(0) lgkmcnt(0)
	s_waitcnt_vscnt null, 0x0
	buffer_gl1_inv
	buffer_gl0_inv
	v_cmpx_eq_u32_e32 0, v18
	s_cbranch_execz .LBB2_104
; %bb.103:                              ;   in Loop: Header=BB2_83 Depth=2
	s_bcnt1_i32_b32 s26, s26
	v_mov_b32_e32 v19, v17
	v_mov_b32_e32 v18, s26
	ds_add_u64 v0, v[18:19]
	s_trap 2
.LBB2_104:                              ;   in Loop: Header=BB2_83 Depth=2
	s_or_b32 exec_lo, exec_lo, s25
	s_trap 2
	ds_read_b64 v[18:19], v0
	s_waitcnt lgkmcnt(0)
	buffer_gl0_inv
	v_add_co_u32 v2, vcc_lo, v2, v87
	v_add_co_ci_u32_e64 v3, null, 0, v3, vcc_lo
	s_mov_b32 s25, exec_lo
	v_cmpx_lt_u64_e64 v[18:19], v[2:3]
	s_cbranch_execz .LBB2_113
; %bb.105:                              ;   in Loop: Header=BB2_83 Depth=2
	s_mov_b32 s26, 0
	s_mov_b32 s29, 0
                                        ; implicit-def: $sgpr27
                                        ; implicit-def: $sgpr28
	s_inst_prefetch 0x1
	s_branch .LBB2_107
	.p2align	6
.LBB2_106:                              ;   in Loop: Header=BB2_107 Depth=3
	s_or_b32 exec_lo, exec_lo, s41
	s_and_b32 s40, exec_lo, s42
	s_or_b32 s26, s40, s26
	s_andn2_b32 s27, s27, exec_lo
	s_and_b32 s40, s28, exec_lo
	s_or_b32 s27, s27, s40
	s_andn2_b32 exec_lo, exec_lo, s26
	s_cbranch_execz .LBB2_111
.LBB2_107:                              ;   Parent Loop BB2_36 Depth=1
                                        ;     Parent Loop BB2_83 Depth=2
                                        ; =>    This Inner Loop Header: Depth=3
	s_add_i32 s29, s29, 1
	s_cmpk_lg_i32 s29, 0x2710
	s_cselect_b32 s40, -1, 0
	s_and_b32 vcc_lo, exec_lo, s40
	s_cbranch_vccz .LBB2_109
; %bb.108:                              ;   in Loop: Header=BB2_107 Depth=3
	s_mov_b32 s42, -1
	s_or_b32 s28, s28, exec_lo
	s_and_saveexec_b32 s41, s40
	s_cbranch_execz .LBB2_106
	s_branch .LBB2_110
	.p2align	6
.LBB2_109:                              ;   in Loop: Header=BB2_107 Depth=3
	s_trap 2
	ds_read_b64 v[18:19], v0
	s_andn2_b32 s40, s40, exec_lo
	s_mov_b32 s29, 0
	s_waitcnt lgkmcnt(0)
	flat_load_dword v18, v[18:19] glc dlc
	s_waitcnt vmcnt(0) lgkmcnt(0)
	buffer_gl1_inv
	buffer_gl0_inv
	v_cmp_eq_u32_e32 vcc_lo, 0, v18
	s_and_b32 s41, vcc_lo, exec_lo
	s_or_b32 s40, s40, s41
	s_mov_b32 s42, -1
	s_or_b32 s28, s28, exec_lo
	s_and_saveexec_b32 s41, s40
	s_cbranch_execz .LBB2_106
.LBB2_110:                              ;   in Loop: Header=BB2_107 Depth=3
	s_sleep 1
	s_trap 2
	ds_read_b64 v[18:19], v0
	s_waitcnt lgkmcnt(0)
	buffer_gl0_inv
	s_andn2_b32 s28, s28, exec_lo
	v_cmp_ge_u64_e32 vcc_lo, v[18:19], v[2:3]
	s_orn2_b32 s42, vcc_lo, exec_lo
	s_branch .LBB2_106
.LBB2_111:                              ;   in Loop: Header=BB2_83 Depth=2
	s_inst_prefetch 0x2
	s_or_b32 exec_lo, exec_lo, s26
	s_and_saveexec_b32 s26, s27
	s_xor_b32 s26, exec_lo, s26
	s_cbranch_execz .LBB2_113
; %bb.112:                              ;   in Loop: Header=BB2_83 Depth=2
	ds_write_b32 v0, v45
	s_trap 2
.LBB2_113:                              ;   in Loop: Header=BB2_83 Depth=2
	s_or_b32 exec_lo, exec_lo, s25
	;;#ASMSTART
	s_wakeup
	;;#ASMEND
.LBB2_114:                              ;   in Loop: Header=BB2_83 Depth=2
	s_or_b32 exec_lo, exec_lo, s24
.LBB2_115:                              ;   in Loop: Header=BB2_83 Depth=2
	s_andn2_saveexec_b32 s23, s23
	s_cbranch_execz .LBB2_117
; %bb.116:                              ;   in Loop: Header=BB2_83 Depth=2
	s_waitcnt vmcnt(0) lgkmcnt(0)
	s_waitcnt_vscnt null, 0x0
	buffer_gl1_inv
	buffer_gl0_inv
	s_barrier
.LBB2_117:                              ;   in Loop: Header=BB2_83 Depth=2
	s_or_b32 exec_lo, exec_lo, s23
.LBB2_118:                              ;   in Loop: Header=BB2_83 Depth=2
	s_or_b32 exec_lo, exec_lo, s12
	v_add_nc_u32_e32 v19, 1, v98
	v_mov_b32_e32 v100, v4
	s_and_saveexec_b32 s23, s11
	s_cbranch_execnz .LBB2_125
; %bb.119:                              ;   in Loop: Header=BB2_83 Depth=2
	s_or_b32 exec_lo, exec_lo, s23
	s_and_saveexec_b32 s12, s7
	s_cbranch_execnz .LBB2_142
.LBB2_120:                              ;   in Loop: Header=BB2_83 Depth=2
	s_or_b32 exec_lo, exec_lo, s12
	s_and_saveexec_b32 s12, s9
	s_cbranch_execz .LBB2_122
.LBB2_121:                              ;   in Loop: Header=BB2_83 Depth=2
	v_add_co_u32 v48, vcc_lo, v48, 1
	v_add_co_ci_u32_e64 v49, null, 0, v49, vcc_lo
	s_waitcnt vmcnt(0) lgkmcnt(0)
	s_waitcnt_vscnt null, 0x0
	flat_store_dwordx2 v[50:51], v[48:49]
.LBB2_122:                              ;   in Loop: Header=BB2_83 Depth=2
	s_or_b32 exec_lo, exec_lo, s12
	s_waitcnt vmcnt(0) lgkmcnt(0)
	v_and_b32_e32 v20, 0x7ffffff8, v98
	v_mov_b32_e32 v21, v17
	v_cmp_gt_i32_e64 s12, s18, v100
	v_cmp_eq_u64_e32 vcc_lo, 0x7ffffff8, v[20:21]
	s_and_b32 s12, vcc_lo, s12
	s_and_saveexec_b32 s23, s12
	s_cbranch_execz .LBB2_82
; %bb.123:                              ;   in Loop: Header=BB2_83 Depth=2
	v_and_b32_e32 v18, 7, v59
	v_ashrrev_i32_e32 v101, 31, v100
	s_mov_b32 s24, 0
	v_mul_lo_u32 v20, s18, v18
	v_lshlrev_b64 v[22:23], 4, v[100:101]
	v_mov_b32_e32 v18, v19
	v_ashrrev_i32_e32 v21, 31, v20
	v_lshlrev_b64 v[20:21], 4, v[20:21]
	v_add_co_u32 v20, vcc_lo, v22, v20
	v_add_co_ci_u32_e64 v22, null, v23, v21, vcc_lo
	v_add_co_u32 v21, vcc_lo, v38, v20
	v_add_co_ci_u32_e64 v22, null, v39, v22, vcc_lo
.LBB2_124:                              ;   Parent Loop BB2_36 Depth=1
                                        ;     Parent Loop BB2_83 Depth=2
                                        ; =>    This Inner Loop Header: Depth=3
	v_mov_b32_e32 v19, v17
	v_add_nc_u32_e32 v100, v100, v1
	v_mov_b32_e32 v20, v18
	v_cmp_le_i32_e32 vcc_lo, s18, v100
	global_store_dwordx4 v[21:22], v[17:20], off
	v_add_co_u32 v21, s12, v21, v85
	v_add_co_ci_u32_e64 v22, null, v22, v86, s12
	s_or_b32 s24, vcc_lo, s24
	s_andn2_b32 exec_lo, exec_lo, s24
	s_cbranch_execnz .LBB2_124
	s_branch .LBB2_82
.LBB2_125:                              ;   in Loop: Header=BB2_83 Depth=2
	s_waitcnt vmcnt(0) lgkmcnt(0)
	v_ashrrev_i32_e32 v18, 31, v20
	v_and_b32_e32 v22, 7, v36
	v_and_b32_e32 v100, 7, v98
	v_mul_lo_u32 v23, v67, v20
	v_mad_u64_u32 v[20:21], null, v66, v20, 0
	v_mul_lo_u32 v18, v66, v18
	v_mul_lo_u32 v22, v22, s18
	;; [unrolled: 1-line block ×3, first 2 shown]
	v_add_nc_u32_e32 v60, 1, v36
	v_mov_b32_e32 v73, v56
	s_mov_b32 s24, 0
                                        ; implicit-def: $vgpr74
	v_add3_u32 v21, v21, v18, v23
	v_ashrrev_i32_e32 v23, 31, v22
	v_ashrrev_i32_e32 v101, 31, v100
	v_lshlrev_b64 v[20:21], 2, v[20:21]
	v_lshlrev_b64 v[22:23], 4, v[22:23]
	v_lshlrev_b64 v[100:101], 4, v[100:101]
	v_add_co_u32 v102, vcc_lo, v57, v20
	v_add_co_ci_u32_e64 v103, null, v58, v21, vcc_lo
	v_add_co_u32 v61, vcc_lo, v34, v22
	v_add_co_ci_u32_e64 v62, null, v35, v23, vcc_lo
	;; [unrolled: 2-line block ×3, first 2 shown]
	v_mov_b32_e32 v100, v4
	s_branch .LBB2_129
.LBB2_126:                              ;   in Loop: Header=BB2_129 Depth=3
	s_or_b32 exec_lo, exec_lo, s12
.LBB2_127:                              ;   in Loop: Header=BB2_129 Depth=3
	s_or_b32 exec_lo, exec_lo, s26
.LBB2_128:                              ;   in Loop: Header=BB2_129 Depth=3
	s_or_b32 exec_lo, exec_lo, s25
	v_lshlrev_b64 v[114:115], 2, v[83:84]
	s_waitcnt vmcnt(0)
	v_xor_b32_e32 v21, v20, v28
	v_xor_b32_e32 v23, v18, v28
	;; [unrolled: 1-line block ×4, first 2 shown]
	v_sub_nc_u32_e32 v73, v73, v83
	v_add_co_u32 v102, vcc_lo, v102, v114
	v_add_co_ci_u32_e64 v103, null, v103, v115, vcc_lo
	v_cmp_gt_u32_e32 vcc_lo, v23, v21
	v_mov_b32_e32 v21, v19
	v_add_nc_u32_e32 v100, v100, v1
	v_cndmask_b32_e32 v18, v18, v20, vcc_lo
	v_cmp_lt_u32_e32 vcc_lo, v101, v75
	v_cndmask_b32_e32 v20, v74, v22, vcc_lo
	v_cmp_gt_i32_e32 vcc_lo, 1, v73
	v_add_co_u32 v22, s12, v63, v112
	v_add_co_ci_u32_e64 v23, null, v72, v113, s12
	s_or_b32 s24, vcc_lo, s24
	global_store_dwordx4 v[22:23], v[18:21], off
	s_andn2_b32 exec_lo, exec_lo, s24
	s_cbranch_execz .LBB2_141
.LBB2_129:                              ;   Parent Loop BB2_36 Depth=1
                                        ;     Parent Loop BB2_83 Depth=2
                                        ; =>    This Loop Header: Depth=3
                                        ;         Child Loop BB2_135 Depth 4
	global_load_dword v18, v[102:103], off slc
	s_mov_b32 s12, exec_lo
	v_cmpx_ne_u32_e32 1, v73
	s_cbranch_execz .LBB2_131
; %bb.130:                              ;   in Loop: Header=BB2_129 Depth=3
	global_load_dword v74, v[102:103], off offset:4 slc
.LBB2_131:                              ;   in Loop: Header=BB2_129 Depth=3
	s_or_b32 exec_lo, exec_lo, s12
	v_mov_b32_e32 v101, v17
	v_lshlrev_b64 v[112:113], 4, v[100:101]
	v_add_co_u32 v114, vcc_lo, v61, v112
	v_add_co_ci_u32_e64 v115, null, v62, v113, vcc_lo
	v_cmp_eq_u32_e32 vcc_lo, 0, v46
	v_mov_b32_e32 v46, 1
	global_load_dwordx4 v[20:23], v[114:115], off slc
	s_and_saveexec_b32 s25, vcc_lo
	s_cbranch_execz .LBB2_128
; %bb.132:                              ;   in Loop: Header=BB2_129 Depth=3
	s_waitcnt vmcnt(0)
	v_cmp_ne_u32_e32 vcc_lo, v60, v21
	v_cmp_ne_u32_e64 s12, v60, v23
	v_mov_b32_e32 v46, 0
	s_or_b32 s12, vcc_lo, s12
	s_and_saveexec_b32 s26, s12
	s_cbranch_execz .LBB2_127
; %bb.133:                              ;   in Loop: Header=BB2_129 Depth=3
	s_mov_b32 s40, 1
	s_mov_b32 s28, 0
                                        ; implicit-def: $sgpr27
                                        ; implicit-def: $sgpr29
	s_inst_prefetch 0x1
	s_branch .LBB2_135
	.p2align	6
.LBB2_134:                              ;   in Loop: Header=BB2_135 Depth=4
	s_or_b32 exec_lo, exec_lo, s42
	s_and_b32 s12, exec_lo, s12
	s_or_b32 s28, s12, s28
	s_andn2_b32 s12, s27, exec_lo
	s_and_b32 s27, s29, exec_lo
	s_or_b32 s27, s12, s27
	s_andn2_b32 exec_lo, exec_lo, s28
	s_cbranch_execz .LBB2_139
.LBB2_135:                              ;   Parent Loop BB2_36 Depth=1
                                        ;     Parent Loop BB2_83 Depth=2
                                        ;       Parent Loop BB2_129 Depth=3
                                        ; =>      This Inner Loop Header: Depth=4
	global_load_dwordx4 v[20:23], v[114:115], off slc
	s_add_i32 s40, s40, 1
	s_mov_b32 s12, -1
	s_cmpk_lg_i32 s40, 0x2710
	s_mov_b32 s41, -1
                                        ; implicit-def: $vgpr101
	s_cbranch_scc0 .LBB2_137
; %bb.136:                              ;   in Loop: Header=BB2_135 Depth=4
	s_or_b32 s29, s29, exec_lo
	s_and_saveexec_b32 s42, s41
	s_cbranch_execz .LBB2_134
	s_branch .LBB2_138
	.p2align	6
.LBB2_137:                              ;   in Loop: Header=BB2_135 Depth=4
	s_trap 2
	ds_read_b64 v[75:76], v0
	s_mov_b32 s40, 0
	s_waitcnt vmcnt(0) lgkmcnt(0)
	s_waitcnt_vscnt null, 0x0
	flat_load_dword v101, v[75:76] glc dlc
	s_waitcnt vmcnt(0) lgkmcnt(0)
	buffer_gl1_inv
	buffer_gl0_inv
	v_cmp_eq_u32_e32 vcc_lo, 0, v101
	s_orn2_b32 s41, vcc_lo, exec_lo
	s_or_b32 s29, s29, exec_lo
	s_and_saveexec_b32 s42, s41
	s_cbranch_execz .LBB2_134
.LBB2_138:                              ;   in Loop: Header=BB2_135 Depth=4
	s_waitcnt vmcnt(0)
	v_cmp_eq_u32_e32 vcc_lo, v60, v21
	v_cmp_eq_u32_e64 s12, v60, v23
	s_andn2_b32 s29, s29, exec_lo
	s_and_b32 s12, vcc_lo, s12
	s_orn2_b32 s12, s12, exec_lo
	s_branch .LBB2_134
.LBB2_139:                              ;   in Loop: Header=BB2_129 Depth=3
	s_inst_prefetch 0x2
	s_or_b32 exec_lo, exec_lo, s28
	v_mov_b32_e32 v46, 0
	s_and_saveexec_b32 s12, s27
	s_xor_b32 s12, exec_lo, s12
	s_cbranch_execz .LBB2_126
; %bb.140:                              ;   in Loop: Header=BB2_129 Depth=3
	v_mov_b32_e32 v46, 1
	s_waitcnt vmcnt(0)
	s_waitcnt_vscnt null, 0x0
	ds_write_b32 v0, v101
	s_trap 2
	s_branch .LBB2_126
.LBB2_141:                              ;   in Loop: Header=BB2_83 Depth=2
	s_or_b32 exec_lo, exec_lo, s24
	s_or_b32 exec_lo, exec_lo, s23
	s_and_saveexec_b32 s12, s7
	s_cbranch_execz .LBB2_120
.LBB2_142:                              ;   in Loop: Header=BB2_83 Depth=2
	s_and_saveexec_b32 s23, s19
	s_xor_b32 s23, exec_lo, s23
	s_cbranch_execz .LBB2_157
; %bb.143:                              ;   in Loop: Header=BB2_83 Depth=2
	s_and_saveexec_b32 s24, s8
	s_cbranch_execz .LBB2_156
; %bb.144:                              ;   in Loop: Header=BB2_83 Depth=2
	s_mov_b32 s26, exec_lo
	s_mov_b32 s25, exec_lo
	v_mbcnt_lo_u32_b32 v18, s26, 0
	s_waitcnt vmcnt(0) lgkmcnt(0)
	s_waitcnt_vscnt null, 0x0
	buffer_gl1_inv
	buffer_gl0_inv
	v_cmpx_eq_u32_e32 0, v18
	s_cbranch_execz .LBB2_146
; %bb.145:                              ;   in Loop: Header=BB2_83 Depth=2
	s_bcnt1_i32_b32 s26, s26
	v_mov_b32_e32 v21, v17
	v_mov_b32_e32 v20, s26
	ds_add_u64 v0, v[20:21]
	s_trap 2
.LBB2_146:                              ;   in Loop: Header=BB2_83 Depth=2
	s_or_b32 exec_lo, exec_lo, s25
	s_trap 2
	ds_read_b64 v[20:21], v0
	s_waitcnt lgkmcnt(0)
	buffer_gl0_inv
	v_add_co_u32 v2, vcc_lo, v2, v87
	v_add_co_ci_u32_e64 v3, null, 0, v3, vcc_lo
	s_mov_b32 s25, exec_lo
	v_cmpx_lt_u64_e64 v[20:21], v[2:3]
	s_cbranch_execz .LBB2_155
; %bb.147:                              ;   in Loop: Header=BB2_83 Depth=2
	s_mov_b32 s26, 0
	s_mov_b32 s29, 0
                                        ; implicit-def: $sgpr27
                                        ; implicit-def: $sgpr28
	s_inst_prefetch 0x1
	s_branch .LBB2_149
	.p2align	6
.LBB2_148:                              ;   in Loop: Header=BB2_149 Depth=3
	s_or_b32 exec_lo, exec_lo, s41
	s_and_b32 s40, exec_lo, s42
	s_or_b32 s26, s40, s26
	s_andn2_b32 s27, s27, exec_lo
	s_and_b32 s40, s28, exec_lo
	s_or_b32 s27, s27, s40
	s_andn2_b32 exec_lo, exec_lo, s26
	s_cbranch_execz .LBB2_153
.LBB2_149:                              ;   Parent Loop BB2_36 Depth=1
                                        ;     Parent Loop BB2_83 Depth=2
                                        ; =>    This Inner Loop Header: Depth=3
	s_add_i32 s29, s29, 1
	s_cmpk_lg_i32 s29, 0x2710
	s_cselect_b32 s40, -1, 0
	s_and_b32 vcc_lo, exec_lo, s40
	s_cbranch_vccz .LBB2_151
; %bb.150:                              ;   in Loop: Header=BB2_149 Depth=3
	s_mov_b32 s42, -1
	s_or_b32 s28, s28, exec_lo
	s_and_saveexec_b32 s41, s40
	s_cbranch_execz .LBB2_148
	s_branch .LBB2_152
	.p2align	6
.LBB2_151:                              ;   in Loop: Header=BB2_149 Depth=3
	s_trap 2
	ds_read_b64 v[20:21], v0
	s_andn2_b32 s40, s40, exec_lo
	s_mov_b32 s29, 0
	s_waitcnt lgkmcnt(0)
	flat_load_dword v18, v[20:21] glc dlc
	s_waitcnt vmcnt(0) lgkmcnt(0)
	buffer_gl1_inv
	buffer_gl0_inv
	v_cmp_eq_u32_e32 vcc_lo, 0, v18
	s_and_b32 s41, vcc_lo, exec_lo
	s_or_b32 s40, s40, s41
	s_mov_b32 s42, -1
	s_or_b32 s28, s28, exec_lo
	s_and_saveexec_b32 s41, s40
	s_cbranch_execz .LBB2_148
.LBB2_152:                              ;   in Loop: Header=BB2_149 Depth=3
	s_sleep 1
	s_trap 2
	ds_read_b64 v[20:21], v0
	s_waitcnt lgkmcnt(0)
	buffer_gl0_inv
	s_andn2_b32 s28, s28, exec_lo
	v_cmp_ge_u64_e32 vcc_lo, v[20:21], v[2:3]
	s_orn2_b32 s42, vcc_lo, exec_lo
	s_branch .LBB2_148
.LBB2_153:                              ;   in Loop: Header=BB2_83 Depth=2
	s_inst_prefetch 0x2
	s_or_b32 exec_lo, exec_lo, s26
	s_and_saveexec_b32 s26, s27
	s_xor_b32 s26, exec_lo, s26
	s_cbranch_execz .LBB2_155
; %bb.154:                              ;   in Loop: Header=BB2_83 Depth=2
	ds_write_b32 v0, v45
	s_trap 2
.LBB2_155:                              ;   in Loop: Header=BB2_83 Depth=2
	s_or_b32 exec_lo, exec_lo, s25
	;;#ASMSTART
	s_wakeup
	;;#ASMEND
.LBB2_156:                              ;   in Loop: Header=BB2_83 Depth=2
	s_or_b32 exec_lo, exec_lo, s24
.LBB2_157:                              ;   in Loop: Header=BB2_83 Depth=2
	s_andn2_saveexec_b32 s23, s23
	s_cbranch_execz .LBB2_159
; %bb.158:                              ;   in Loop: Header=BB2_83 Depth=2
	s_waitcnt vmcnt(0) lgkmcnt(0)
	s_waitcnt_vscnt null, 0x0
	buffer_gl1_inv
	buffer_gl0_inv
	s_barrier
.LBB2_159:                              ;   in Loop: Header=BB2_83 Depth=2
	s_or_b32 exec_lo, exec_lo, s23
	s_or_b32 exec_lo, exec_lo, s12
	s_and_saveexec_b32 s12, s9
	s_cbranch_execnz .LBB2_121
	s_branch .LBB2_122
.LBB2_160:                              ;   in Loop: Header=BB2_36 Depth=1
	v_mov_b32_e32 v22, v98
	v_mov_b32_e32 v23, v99
	s_and_saveexec_b32 s22, s11
	s_cbranch_execnz .LBB2_163
; %bb.161:                              ;   in Loop: Header=BB2_36 Depth=1
	s_or_b32 exec_lo, exec_lo, s22
	s_and_saveexec_b32 s11, s7
	s_cbranch_execnz .LBB2_186
.LBB2_162:                              ;   in Loop: Header=BB2_36 Depth=1
	s_or_b32 exec_lo, exec_lo, s11
	s_and_saveexec_b32 s11, s9
	s_cbranch_execz .LBB2_35
	s_branch .LBB2_204
.LBB2_163:                              ;   in Loop: Header=BB2_36 Depth=1
	flat_load_dword v18, v[24:25]
	v_and_b32_e32 v21, 7, v36
	v_add_nc_u32_e32 v103, 1, v36
	v_mov_b32_e32 v100, v4
	s_mov_b32 s23, 0
                                        ; implicit-def: $vgpr114
	s_waitcnt vmcnt(0) lgkmcnt(0)
	v_ashrrev_i32_e32 v20, 31, v18
	v_mul_lo_u32 v98, v67, v18
	v_mad_u64_u32 v[18:19], null, v66, v18, 0
	v_mul_lo_u32 v99, v66, v20
	v_mul_lo_u32 v20, v21, s18
	v_add3_u32 v19, v19, v99, v98
	v_ashrrev_i32_e32 v21, 31, v20
	v_add_co_u32 v98, vcc_lo, v11, v96
	v_add_co_ci_u32_e64 v99, null, v12, v97, vcc_lo
	v_lshlrev_b64 v[18:19], 2, v[18:19]
	v_lshlrev_b64 v[20:21], 4, v[20:21]
	v_add_co_u32 v96, vcc_lo, v118, v96
	v_add_co_ci_u32_e64 v97, null, v119, v97, vcc_lo
	v_add_co_u32 v18, vcc_lo, v98, v18
	v_add_co_ci_u32_e64 v19, null, v99, v19, vcc_lo
	;; [unrolled: 2-line block ×4, first 2 shown]
	s_branch .LBB2_165
.LBB2_164:                              ;   in Loop: Header=BB2_165 Depth=2
	v_lshlrev_b64 v[18:19], 2, v[83:84]
	v_sub_nc_u32_e32 v56, v56, v83
	v_add_nc_u32_e32 v100, v100, v1
	v_cmp_gt_i32_e32 vcc_lo, 1, v56
	v_add_co_u32 v98, s11, v98, v18
	v_add_co_ci_u32_e64 v99, null, v99, v19, s11
	v_add_co_u32 v96, s11, v96, v18
	v_add_co_ci_u32_e64 v97, null, v97, v19, s11
	s_or_b32 s23, vcc_lo, s23
	s_andn2_b32 exec_lo, exec_lo, s23
	s_cbranch_execz .LBB2_185
.LBB2_165:                              ;   Parent Loop BB2_36 Depth=1
                                        ; =>  This Loop Header: Depth=2
                                        ;       Child Loop BB2_171 Depth 3
	global_load_dword v115, v[98:99], off slc
	v_cmp_ne_u32_e32 vcc_lo, 1, v56
	s_and_saveexec_b32 s11, vcc_lo
	s_cbranch_execz .LBB2_167
; %bb.166:                              ;   in Loop: Header=BB2_165 Depth=2
	global_load_dword v114, v[98:99], off offset:4 slc
.LBB2_167:                              ;   in Loop: Header=BB2_165 Depth=2
	s_or_b32 exec_lo, exec_lo, s11
	v_mov_b32_e32 v101, v17
	v_lshlrev_b64 v[18:19], 4, v[100:101]
	v_add_co_u32 v101, s11, v112, v18
	v_add_co_ci_u32_e64 v102, null, v113, v19, s11
	v_cmp_eq_u32_e64 s11, 0, v46
	v_mov_b32_e32 v46, 1
	global_load_dwordx4 v[18:21], v[101:102], off slc
	s_and_saveexec_b32 s24, s11
	s_cbranch_execz .LBB2_179
; %bb.168:                              ;   in Loop: Header=BB2_165 Depth=2
	s_waitcnt vmcnt(0)
	v_cmp_ne_u32_e64 s11, v103, v19
	v_cmp_ne_u32_e64 s12, v103, v21
	v_mov_b32_e32 v46, 0
	s_or_b32 s11, s11, s12
	s_and_saveexec_b32 s25, s11
	s_cbranch_execz .LBB2_178
; %bb.169:                              ;   in Loop: Header=BB2_165 Depth=2
	s_mov_b32 s29, 1
	s_mov_b32 s27, 0
                                        ; implicit-def: $sgpr26
                                        ; implicit-def: $sgpr28
	s_inst_prefetch 0x1
	s_branch .LBB2_171
	.p2align	6
.LBB2_170:                              ;   in Loop: Header=BB2_171 Depth=3
	s_or_b32 exec_lo, exec_lo, s40
	s_and_b32 s11, exec_lo, s12
	s_or_b32 s27, s11, s27
	s_andn2_b32 s11, s26, exec_lo
	s_and_b32 s12, s28, exec_lo
	s_or_b32 s26, s11, s12
	s_andn2_b32 exec_lo, exec_lo, s27
	s_cbranch_execz .LBB2_175
.LBB2_171:                              ;   Parent Loop BB2_36 Depth=1
                                        ;     Parent Loop BB2_165 Depth=2
                                        ; =>    This Inner Loop Header: Depth=3
	global_load_dwordx4 v[18:21], v[101:102], off slc
	s_add_i32 s29, s29, 1
	s_mov_b32 s12, -1
	s_cmpk_lg_i32 s29, 0x2710
	s_mov_b32 s11, -1
                                        ; implicit-def: $vgpr47
	s_cbranch_scc0 .LBB2_173
; %bb.172:                              ;   in Loop: Header=BB2_171 Depth=3
	s_or_b32 s28, s28, exec_lo
	s_and_saveexec_b32 s40, s11
	s_cbranch_execz .LBB2_170
	s_branch .LBB2_174
	.p2align	6
.LBB2_173:                              ;   in Loop: Header=BB2_171 Depth=3
	s_trap 2
	ds_read_b64 v[46:47], v0
	s_mov_b32 s29, 0
	s_waitcnt vmcnt(0) lgkmcnt(0)
	s_waitcnt_vscnt null, 0x0
	flat_load_dword v47, v[46:47] glc dlc
	s_waitcnt vmcnt(0) lgkmcnt(0)
	buffer_gl1_inv
	buffer_gl0_inv
	v_cmp_eq_u32_e64 s11, 0, v47
	s_orn2_b32 s11, s11, exec_lo
	s_or_b32 s28, s28, exec_lo
	s_and_saveexec_b32 s40, s11
	s_cbranch_execz .LBB2_170
.LBB2_174:                              ;   in Loop: Header=BB2_171 Depth=3
	s_waitcnt vmcnt(0)
	v_cmp_eq_u32_e64 s11, v103, v19
	v_cmp_eq_u32_e64 s12, v103, v21
	s_andn2_b32 s28, s28, exec_lo
	s_and_b32 s11, s11, s12
	s_orn2_b32 s12, s11, exec_lo
	s_branch .LBB2_170
.LBB2_175:                              ;   in Loop: Header=BB2_165 Depth=2
	s_inst_prefetch 0x2
	s_or_b32 exec_lo, exec_lo, s27
	v_mov_b32_e32 v46, 0
	s_and_saveexec_b32 s11, s26
	s_xor_b32 s11, exec_lo, s11
	s_cbranch_execz .LBB2_177
; %bb.176:                              ;   in Loop: Header=BB2_165 Depth=2
	v_mov_b32_e32 v46, 1
	s_waitcnt vmcnt(0)
	s_waitcnt_vscnt null, 0x0
	ds_write_b32 v0, v47
	s_trap 2
.LBB2_177:                              ;   in Loop: Header=BB2_165 Depth=2
	s_or_b32 exec_lo, exec_lo, s11
.LBB2_178:                              ;   in Loop: Header=BB2_165 Depth=2
	s_or_b32 exec_lo, exec_lo, s25
.LBB2_179:                              ;   in Loop: Header=BB2_165 Depth=2
	s_or_b32 exec_lo, exec_lo, s24
	s_waitcnt vmcnt(0)
	v_xor_b32_e32 v19, v18, v28
	v_xor_b32_e32 v101, v115, v28
	v_cmp_ne_u32_e64 s11, 1, v56
	v_xor_b32_e32 v102, v20, v28
	v_xor_b32_e32 v47, v114, v28
	v_cmp_gt_u32_e64 s12, v101, v19
	s_and_b32 s11, s10, s11
	v_cndmask_b32_e64 v21, 0, 1, s11
	v_cndmask_b32_e64 v18, v115, v18, s12
	v_cmp_lt_u32_e64 s12, v102, v47
	v_cmp_ne_u32_e64 s11, 0, v21
	v_cndmask_b32_e64 v19, v114, v20, s12
	s_cmp_lg_u32 s11, exec_lo
	s_mov_b32 s11, -1
	s_cbranch_scc0 .LBB2_183
; %bb.180:                              ;   in Loop: Header=BB2_165 Depth=2
	flat_store_dword v[96:97], v18
	s_and_saveexec_b32 s11, vcc_lo
	s_cbranch_execz .LBB2_182
; %bb.181:                              ;   in Loop: Header=BB2_165 Depth=2
	flat_store_dword v[96:97], v19 offset:4
.LBB2_182:                              ;   in Loop: Header=BB2_165 Depth=2
	s_or_b32 exec_lo, exec_lo, s11
	s_mov_b32 s11, 0
.LBB2_183:                              ;   in Loop: Header=BB2_165 Depth=2
	s_andn2_b32 vcc_lo, exec_lo, s11
	s_cbranch_vccnz .LBB2_164
; %bb.184:                              ;   in Loop: Header=BB2_165 Depth=2
	global_store_dwordx2 v[96:97], v[18:19], off
	s_branch .LBB2_164
.LBB2_185:                              ;   in Loop: Header=BB2_36 Depth=1
	s_or_b32 exec_lo, exec_lo, s23
	s_or_b32 exec_lo, exec_lo, s22
	s_and_saveexec_b32 s11, s7
	s_cbranch_execz .LBB2_162
.LBB2_186:                              ;   in Loop: Header=BB2_36 Depth=1
	s_and_saveexec_b32 s12, s19
	s_xor_b32 s12, exec_lo, s12
	s_cbranch_execz .LBB2_201
; %bb.187:                              ;   in Loop: Header=BB2_36 Depth=1
	s_and_saveexec_b32 s22, s8
	s_cbranch_execz .LBB2_200
; %bb.188:                              ;   in Loop: Header=BB2_36 Depth=1
	s_mov_b32 s24, exec_lo
	s_mov_b32 s23, exec_lo
	v_mbcnt_lo_u32_b32 v18, s24, 0
	s_waitcnt lgkmcnt(0)
	s_waitcnt_vscnt null, 0x0
	buffer_gl1_inv
	buffer_gl0_inv
	v_cmpx_eq_u32_e32 0, v18
	s_cbranch_execz .LBB2_190
; %bb.189:                              ;   in Loop: Header=BB2_36 Depth=1
	s_bcnt1_i32_b32 s24, s24
	v_mov_b32_e32 v19, v17
	v_mov_b32_e32 v18, s24
	ds_add_u64 v0, v[18:19]
	s_trap 2
.LBB2_190:                              ;   in Loop: Header=BB2_36 Depth=1
	s_or_b32 exec_lo, exec_lo, s23
	s_trap 2
	ds_read_b64 v[18:19], v0
	s_waitcnt lgkmcnt(0)
	buffer_gl0_inv
	v_add_co_u32 v2, vcc_lo, v2, v87
	v_add_co_ci_u32_e64 v3, null, 0, v3, vcc_lo
	s_mov_b32 s23, exec_lo
	v_cmpx_lt_u64_e64 v[18:19], v[2:3]
	s_cbranch_execz .LBB2_199
; %bb.191:                              ;   in Loop: Header=BB2_36 Depth=1
	s_mov_b32 s24, 0
	s_mov_b32 s27, 0
                                        ; implicit-def: $sgpr25
                                        ; implicit-def: $sgpr26
	s_inst_prefetch 0x1
	s_branch .LBB2_193
	.p2align	6
.LBB2_192:                              ;   in Loop: Header=BB2_193 Depth=2
	s_or_b32 exec_lo, exec_lo, s29
	s_and_b32 s28, exec_lo, s40
	s_or_b32 s24, s28, s24
	s_andn2_b32 s25, s25, exec_lo
	s_and_b32 s28, s26, exec_lo
	s_or_b32 s25, s25, s28
	s_andn2_b32 exec_lo, exec_lo, s24
	s_cbranch_execz .LBB2_197
.LBB2_193:                              ;   Parent Loop BB2_36 Depth=1
                                        ; =>  This Inner Loop Header: Depth=2
	s_add_i32 s27, s27, 1
	s_cmpk_lg_i32 s27, 0x2710
	s_cselect_b32 s28, -1, 0
	s_and_b32 vcc_lo, exec_lo, s28
	s_cbranch_vccz .LBB2_195
; %bb.194:                              ;   in Loop: Header=BB2_193 Depth=2
	s_mov_b32 s40, -1
	s_or_b32 s26, s26, exec_lo
	s_and_saveexec_b32 s29, s28
	s_cbranch_execz .LBB2_192
	s_branch .LBB2_196
	.p2align	6
.LBB2_195:                              ;   in Loop: Header=BB2_193 Depth=2
	s_trap 2
	ds_read_b64 v[18:19], v0
	s_andn2_b32 s28, s28, exec_lo
	s_mov_b32 s27, 0
	s_waitcnt lgkmcnt(0)
	flat_load_dword v18, v[18:19] glc dlc
	s_waitcnt vmcnt(0) lgkmcnt(0)
	buffer_gl1_inv
	buffer_gl0_inv
	v_cmp_eq_u32_e32 vcc_lo, 0, v18
	s_and_b32 s29, vcc_lo, exec_lo
	s_or_b32 s28, s28, s29
	s_mov_b32 s40, -1
	s_or_b32 s26, s26, exec_lo
	s_and_saveexec_b32 s29, s28
	s_cbranch_execz .LBB2_192
.LBB2_196:                              ;   in Loop: Header=BB2_193 Depth=2
	s_sleep 1
	s_trap 2
	ds_read_b64 v[18:19], v0
	s_waitcnt lgkmcnt(0)
	buffer_gl0_inv
	s_andn2_b32 s26, s26, exec_lo
	v_cmp_ge_u64_e32 vcc_lo, v[18:19], v[2:3]
	s_orn2_b32 s40, vcc_lo, exec_lo
	s_branch .LBB2_192
.LBB2_197:                              ;   in Loop: Header=BB2_36 Depth=1
	s_inst_prefetch 0x2
	s_or_b32 exec_lo, exec_lo, s24
	s_and_saveexec_b32 s24, s25
	s_xor_b32 s24, exec_lo, s24
	s_cbranch_execz .LBB2_199
; %bb.198:                              ;   in Loop: Header=BB2_36 Depth=1
	ds_write_b32 v0, v45
	s_trap 2
.LBB2_199:                              ;   in Loop: Header=BB2_36 Depth=1
	s_or_b32 exec_lo, exec_lo, s23
	;;#ASMSTART
	s_wakeup
	;;#ASMEND
.LBB2_200:                              ;   in Loop: Header=BB2_36 Depth=1
	s_or_b32 exec_lo, exec_lo, s22
.LBB2_201:                              ;   in Loop: Header=BB2_36 Depth=1
	s_andn2_saveexec_b32 s12, s12
	s_cbranch_execz .LBB2_203
; %bb.202:                              ;   in Loop: Header=BB2_36 Depth=1
	s_waitcnt lgkmcnt(0)
	s_waitcnt_vscnt null, 0x0
	buffer_gl1_inv
	buffer_gl0_inv
	s_barrier
.LBB2_203:                              ;   in Loop: Header=BB2_36 Depth=1
	s_or_b32 exec_lo, exec_lo, s12
	s_or_b32 exec_lo, exec_lo, s11
	s_and_saveexec_b32 s11, s9
	s_cbranch_execz .LBB2_35
.LBB2_204:                              ;   in Loop: Header=BB2_36 Depth=1
	v_add_co_u32 v48, vcc_lo, v48, 1
	v_add_co_ci_u32_e64 v49, null, 0, v49, vcc_lo
	s_waitcnt lgkmcnt(0)
	s_waitcnt_vscnt null, 0x0
	flat_store_dwordx2 v[50:51], v[48:49]
	s_branch .LBB2_35
.LBB2_205:
	s_or_b32 exec_lo, exec_lo, s20
	s_or_b32 exec_lo, exec_lo, s17
	s_and_saveexec_b32 s5, s16
	s_cbranch_execz .LBB2_20
.LBB2_206:
	s_waitcnt vmcnt(0) lgkmcnt(0)
	flat_store_dwordx2 v[32:33], v[48:49] offset:104
	s_or_b32 exec_lo, exec_lo, s5
	s_and_saveexec_b32 s5, s4
	s_cbranch_execnz .LBB2_21
	s_branch .LBB2_22
.LBB2_207:
	s_inst_prefetch 0x2
	s_or_b32 exec_lo, exec_lo, s8
	s_and_saveexec_b32 s8, s9
	s_xor_b32 s8, exec_lo, s8
	s_cbranch_execz .LBB2_209
; %bb.208:
	v_mov_b32_e32 v0, 1
	ds_write_b32 v0, v0
	s_trap 2
.LBB2_209:
	s_or_b32 exec_lo, exec_lo, s7
	;;#ASMSTART
	s_wakeup
	;;#ASMEND
.LBB2_210:
	s_or_b32 exec_lo, exec_lo, s6
.LBB2_211:
	s_andn2_saveexec_b32 s5, s5
	s_cbranch_execz .LBB2_213
; %bb.212:
	s_waitcnt vmcnt(0) lgkmcnt(0)
	s_waitcnt_vscnt null, 0x0
	buffer_gl1_inv
	buffer_gl0_inv
	s_barrier
.LBB2_213:
	s_or_b32 exec_lo, exec_lo, s4
	s_clause 0x14
	buffer_load_dword v76, off, s[0:3], s32
	buffer_load_dword v75, off, s[0:3], s32 offset:4
	buffer_load_dword v74, off, s[0:3], s32 offset:8
	;; [unrolled: 1-line block ×20, first 2 shown]
	s_waitcnt vmcnt(0) lgkmcnt(0)
	s_setpc_b64 s[30:31]
.Lfunc_end2:
	.size	_ZN12_GLOBAL__N_17runRingIj10FuncMinMaxIjE7ProtoLLLi0ELi2ELi0EEEviiP15ncclDevWorkColl, .Lfunc_end2-_ZN12_GLOBAL__N_17runRingIj10FuncMinMaxIjE7ProtoLLLi0ELi2ELi0EEEviiP15ncclDevWorkColl
                                        ; -- End function
	.set .L_ZN12_GLOBAL__N_17runRingIj10FuncMinMaxIjE7ProtoLLLi0ELi2ELi0EEEviiP15ncclDevWorkColl.num_vgpr, 120
	.set .L_ZN12_GLOBAL__N_17runRingIj10FuncMinMaxIjE7ProtoLLLi0ELi2ELi0EEEviiP15ncclDevWorkColl.num_agpr, 0
	.set .L_ZN12_GLOBAL__N_17runRingIj10FuncMinMaxIjE7ProtoLLLi0ELi2ELi0EEEviiP15ncclDevWorkColl.numbered_sgpr, 45
	.set .L_ZN12_GLOBAL__N_17runRingIj10FuncMinMaxIjE7ProtoLLLi0ELi2ELi0EEEviiP15ncclDevWorkColl.num_named_barrier, 0
	.set .L_ZN12_GLOBAL__N_17runRingIj10FuncMinMaxIjE7ProtoLLLi0ELi2ELi0EEEviiP15ncclDevWorkColl.private_seg_size, 88
	.set .L_ZN12_GLOBAL__N_17runRingIj10FuncMinMaxIjE7ProtoLLLi0ELi2ELi0EEEviiP15ncclDevWorkColl.uses_vcc, 1
	.set .L_ZN12_GLOBAL__N_17runRingIj10FuncMinMaxIjE7ProtoLLLi0ELi2ELi0EEEviiP15ncclDevWorkColl.uses_flat_scratch, 1
	.set .L_ZN12_GLOBAL__N_17runRingIj10FuncMinMaxIjE7ProtoLLLi0ELi2ELi0EEEviiP15ncclDevWorkColl.has_dyn_sized_stack, 0
	.set .L_ZN12_GLOBAL__N_17runRingIj10FuncMinMaxIjE7ProtoLLLi0ELi2ELi0EEEviiP15ncclDevWorkColl.has_recursion, 0
	.set .L_ZN12_GLOBAL__N_17runRingIj10FuncMinMaxIjE7ProtoLLLi0ELi2ELi0EEEviiP15ncclDevWorkColl.has_indirect_call, 0
	.section	.AMDGPU.csdata,"",@progbits
; Function info:
; codeLenInByte = 8280
; TotalNumSgprs: 47
; NumVgprs: 120
; ScratchSize: 88
; MemoryBound: 0
	.text
	.p2align	2                               ; -- Begin function _Z50ncclDevFunc_ReduceScatter_RING_LL_MinMax_u32_0_0_2v
	.type	_Z50ncclDevFunc_ReduceScatter_RING_LL_MinMax_u32_0_0_2v,@function
_Z50ncclDevFunc_ReduceScatter_RING_LL_MinMax_u32_0_0_2v: ; @_Z50ncclDevFunc_ReduceScatter_RING_LL_MinMax_u32_0_0_2v
; %bb.0:
	s_waitcnt vmcnt(0) expcnt(0) lgkmcnt(0)
	s_mov_b32 s58, s33
	s_mov_b32 s33, s32
	s_or_saveexec_b32 s4, -1
	buffer_store_dword v42, off, s[0:3], s33 offset:8 ; 4-byte Folded Spill
	s_mov_b32 exec_lo, s4
	s_addk_i32 s32, 0x200
	buffer_store_dword v40, off, s[0:3], s33 offset:4 ; 4-byte Folded Spill
	buffer_store_dword v41, off, s[0:3], s33 ; 4-byte Folded Spill
	v_writelane_b32 v42, s30, 0
	v_writelane_b32 v42, s31, 1
	s_trap 2
	ds_read_b32 v2, v0
	v_and_b32_e32 v40, 0x3ff, v31
	s_mov_b32 s45, s12
	s_mov_b64 s[46:47], s[8:9]
	s_mov_b32 s4, exec_lo
	s_waitcnt lgkmcnt(0)
	v_cmpx_lt_i32_e64 v40, v2
	s_cbranch_execz .LBB3_5
; %bb.1:
	s_load_dword s5, s[46:47], 0x0
	v_mov_b32_e32 v1, 0
	v_mov_b32_e32 v5, v40
                                        ; implicit-def: $vgpr6
	s_waitcnt lgkmcnt(0)
	s_cmp_lt_u32 s45, s5
	s_cselect_b32 s5, 12, 18
	s_add_u32 s6, s46, s5
	s_addc_u32 s7, s47, 0
	s_mov_b32 s5, 0
	global_load_ushort v3, v1, s[6:7]
	s_trap 2
	ds_read_b32 v0, v0
	s_waitcnt vmcnt(0) lgkmcnt(0)
	v_mul_lo_u32 v4, v0, v3
	s_branch .LBB3_3
	.p2align	6
.LBB3_2:                                ;   in Loop: Header=BB3_3 Depth=1
	s_or_b32 exec_lo, exec_lo, s6
	v_add_nc_u32_e32 v5, v5, v3
	v_add_nc_u32_e32 v6, v6, v4
	v_cmp_ge_i32_e32 vcc_lo, v5, v2
	s_or_b32 s5, vcc_lo, s5
	s_andn2_b32 exec_lo, exec_lo, s5
	s_cbranch_execz .LBB3_5
.LBB3_3:                                ; =>This Inner Loop Header: Depth=1
	ds_read_b32 v0, v6
	s_mov_b32 s6, exec_lo
	s_waitcnt lgkmcnt(0)
	v_and_b32_e32 v0, 0x1000000, v0
	v_cmpx_ne_u32_e32 0, v0
	s_cbranch_execz .LBB3_2
; %bb.4:                                ;   in Loop: Header=BB3_3 Depth=1
	ds_read_b64 v[7:8], v6 offset:104
	s_waitcnt lgkmcnt(0)
	flat_load_dword v0, v[7:8]
	s_waitcnt vmcnt(0) lgkmcnt(0)
	ds_write_b64 v6, v[0:1] offset:104
	s_branch .LBB3_2
.LBB3_5:
	s_or_b32 exec_lo, exec_lo, s4
	s_waitcnt lgkmcnt(0)
	s_waitcnt_vscnt null, 0x0
	s_barrier
	buffer_gl0_inv
	s_trap 2
	ds_read_b32 v0, v0
	s_waitcnt lgkmcnt(0)
	v_cmp_gt_i32_e32 vcc_lo, 1, v0
	s_cbranch_vccnz .LBB3_13
; %bb.6:
	v_mov_b32_e32 v41, 5
	s_mov_b32 s56, 0
	s_inst_prefetch 0x1
	s_branch .LBB3_8
	.p2align	6
.LBB3_7:                                ;   in Loop: Header=BB3_8 Depth=1
	s_or_b32 exec_lo, exec_lo, s57
	s_trap 2
	ds_read_b32 v0, v0
	s_add_i32 s56, s56, 1
	s_waitcnt lgkmcnt(0)
	v_cmp_lt_i32_e32 vcc_lo, s56, v0
	s_cbranch_vccz .LBB3_13
.LBB3_8:                                ; =>This Inner Loop Header: Depth=1
	s_trap 2
	ds_read_b32 v0, v0
	s_cmp_eq_u32 s56, 0
	s_cbranch_scc1 .LBB3_11
; %bb.9:                                ;   in Loop: Header=BB3_8 Depth=1
	s_trap 2
	s_waitcnt lgkmcnt(0)
	ds_read_b32 v1, v0
	s_waitcnt lgkmcnt(0)
	v_xor_b32_e32 v1, v1, v0
	v_and_b32_e32 v1, 0xff0000, v1
	v_cmp_eq_u32_e32 vcc_lo, 0, v1
	s_cbranch_vccnz .LBB3_11
; %bb.10:                               ;   in Loop: Header=BB3_8 Depth=1
	s_barrier
	buffer_gl0_inv
	ds_read_b32 v0, v0
.LBB3_11:                               ;   in Loop: Header=BB3_8 Depth=1
	s_waitcnt lgkmcnt(0)
	v_lshlrev_b32_sdwa v1, v41, v0 dst_sel:DWORD dst_unused:UNUSED_PAD src0_sel:DWORD src1_sel:BYTE_2
	s_mov_b32 s57, exec_lo
	v_cmpx_lt_u32_e64 v40, v1
	s_cbranch_execz .LBB3_7
; %bb.12:                               ;   in Loop: Header=BB3_8 Depth=1
	s_mov_b64 s[4:5], src_shared_base
	v_mov_b32_e32 v0, v40
	v_mov_b32_e32 v3, s5
	s_getpc_b64 s[6:7]
	s_add_u32 s6, s6, _ZN12_GLOBAL__N_17runRingIj10FuncMinMaxIjE7ProtoLLLi0ELi2ELi0EEEviiP15ncclDevWorkColl@rel32@lo+4
	s_addc_u32 s7, s7, _ZN12_GLOBAL__N_17runRingIj10FuncMinMaxIjE7ProtoLLLi0ELi2ELi0EEEviiP15ncclDevWorkColl@rel32@hi+12
	s_mov_b64 s[8:9], s[46:47]
	s_mov_b32 s12, s45
	s_swappc_b64 s[30:31], s[6:7]
	s_branch .LBB3_7
.LBB3_13:
	s_inst_prefetch 0x2
	s_clause 0x1
	buffer_load_dword v41, off, s[0:3], s33
	buffer_load_dword v40, off, s[0:3], s33 offset:4
	v_readlane_b32 s30, v42, 0
	v_readlane_b32 s31, v42, 1
	s_mov_b32 s32, s33
	s_or_saveexec_b32 s4, -1
	buffer_load_dword v42, off, s[0:3], s33 offset:8 ; 4-byte Folded Reload
	s_mov_b32 exec_lo, s4
	s_mov_b32 s33, s58
	s_waitcnt vmcnt(0)
	s_setpc_b64 s[30:31]
.Lfunc_end3:
	.size	_Z50ncclDevFunc_ReduceScatter_RING_LL_MinMax_u32_0_0_2v, .Lfunc_end3-_Z50ncclDevFunc_ReduceScatter_RING_LL_MinMax_u32_0_0_2v
                                        ; -- End function
	.set .L_Z50ncclDevFunc_ReduceScatter_RING_LL_MinMax_u32_0_0_2v.num_vgpr, max(43, .L_ZN12_GLOBAL__N_17runRingIj10FuncMinMaxIjE7ProtoLLLi0ELi2ELi0EEEviiP15ncclDevWorkColl.num_vgpr)
	.set .L_Z50ncclDevFunc_ReduceScatter_RING_LL_MinMax_u32_0_0_2v.num_agpr, max(0, .L_ZN12_GLOBAL__N_17runRingIj10FuncMinMaxIjE7ProtoLLLi0ELi2ELi0EEEviiP15ncclDevWorkColl.num_agpr)
	.set .L_Z50ncclDevFunc_ReduceScatter_RING_LL_MinMax_u32_0_0_2v.numbered_sgpr, max(59, .L_ZN12_GLOBAL__N_17runRingIj10FuncMinMaxIjE7ProtoLLLi0ELi2ELi0EEEviiP15ncclDevWorkColl.numbered_sgpr)
	.set .L_Z50ncclDevFunc_ReduceScatter_RING_LL_MinMax_u32_0_0_2v.num_named_barrier, max(0, .L_ZN12_GLOBAL__N_17runRingIj10FuncMinMaxIjE7ProtoLLLi0ELi2ELi0EEEviiP15ncclDevWorkColl.num_named_barrier)
	.set .L_Z50ncclDevFunc_ReduceScatter_RING_LL_MinMax_u32_0_0_2v.private_seg_size, 16+max(.L_ZN12_GLOBAL__N_17runRingIj10FuncMinMaxIjE7ProtoLLLi0ELi2ELi0EEEviiP15ncclDevWorkColl.private_seg_size)
	.set .L_Z50ncclDevFunc_ReduceScatter_RING_LL_MinMax_u32_0_0_2v.uses_vcc, or(1, .L_ZN12_GLOBAL__N_17runRingIj10FuncMinMaxIjE7ProtoLLLi0ELi2ELi0EEEviiP15ncclDevWorkColl.uses_vcc)
	.set .L_Z50ncclDevFunc_ReduceScatter_RING_LL_MinMax_u32_0_0_2v.uses_flat_scratch, or(0, .L_ZN12_GLOBAL__N_17runRingIj10FuncMinMaxIjE7ProtoLLLi0ELi2ELi0EEEviiP15ncclDevWorkColl.uses_flat_scratch)
	.set .L_Z50ncclDevFunc_ReduceScatter_RING_LL_MinMax_u32_0_0_2v.has_dyn_sized_stack, or(0, .L_ZN12_GLOBAL__N_17runRingIj10FuncMinMaxIjE7ProtoLLLi0ELi2ELi0EEEviiP15ncclDevWorkColl.has_dyn_sized_stack)
	.set .L_Z50ncclDevFunc_ReduceScatter_RING_LL_MinMax_u32_0_0_2v.has_recursion, or(1, .L_ZN12_GLOBAL__N_17runRingIj10FuncMinMaxIjE7ProtoLLLi0ELi2ELi0EEEviiP15ncclDevWorkColl.has_recursion)
	.set .L_Z50ncclDevFunc_ReduceScatter_RING_LL_MinMax_u32_0_0_2v.has_indirect_call, or(0, .L_ZN12_GLOBAL__N_17runRingIj10FuncMinMaxIjE7ProtoLLLi0ELi2ELi0EEEviiP15ncclDevWorkColl.has_indirect_call)
	.section	.AMDGPU.csdata,"",@progbits
; Function info:
; codeLenInByte = 644
; TotalNumSgprs: 61
; NumVgprs: 120
; ScratchSize: 104
; MemoryBound: 0
	.text
	.p2align	2                               ; -- Begin function _ZN12_GLOBAL__N_17runRingIj10FuncMinMaxIjE7ProtoLLLi0ELi4ELi0EEEviiP15ncclDevWorkColl
	.type	_ZN12_GLOBAL__N_17runRingIj10FuncMinMaxIjE7ProtoLLLi0ELi4ELi0EEEviiP15ncclDevWorkColl,@function
_ZN12_GLOBAL__N_17runRingIj10FuncMinMaxIjE7ProtoLLLi0ELi4ELi0EEEviiP15ncclDevWorkColl: ; @_ZN12_GLOBAL__N_17runRingIj10FuncMinMaxIjE7ProtoLLLi0ELi4ELi0EEEviiP15ncclDevWorkColl
; %bb.0:
	s_waitcnt vmcnt(0) expcnt(0) lgkmcnt(0)
	buffer_store_dword v40, off, s[0:3], s32 offset:80 ; 4-byte Folded Spill
	buffer_store_dword v41, off, s[0:3], s32 offset:76 ; 4-byte Folded Spill
	;; [unrolled: 1-line block ×20, first 2 shown]
	buffer_store_dword v76, off, s[0:3], s32 ; 4-byte Folded Spill
	s_trap 2
	s_clause 0x2
	flat_load_dword v10, v[2:3]
	flat_load_dwordx4 v[5:8], v[2:3] offset:72
	flat_load_dwordx2 v[20:21], v[2:3] offset:88
	v_mov_b32_e32 v4, v0
                                        ; implicit-def: $vgpr18_vgpr19
                                        ; implicit-def: $vgpr26_vgpr27
	s_waitcnt vmcnt(2) lgkmcnt(2)
	v_not_b32_sdwa v0, v10 dst_sel:DWORD dst_unused:UNUSED_PAD src0_sel:BYTE_0
	ds_read_b32 v9, v0
	ds_read_b64 v[24:25], v0
	v_add_nc_u32_sdwa v11, v10, v0 dst_sel:DWORD dst_unused:UNUSED_PAD src0_sel:BYTE_1 src1_sel:DWORD
	v_ashrrev_i32_e32 v12, 31, v11
	s_waitcnt vmcnt(1) lgkmcnt(3)
	v_mul_lo_u32 v13, v8, v11
	v_mad_u64_u32 v[66:67], null, v7, v11, 0
	v_mul_lo_u32 v11, v7, v12
	v_add3_u32 v67, v67, v11, v13
	s_waitcnt lgkmcnt(1)
	v_readfirstlane_b32 s14, v9
	v_cmp_ne_u32_sdwa s4, v9, v10 src0_sel:DWORD src1_sel:BYTE_0
	s_and_saveexec_b32 s5, s4
	s_xor_b32 s4, exec_lo, s5
	s_cbranch_execz .LBB4_6
; %bb.1:
	v_cmp_ne_u32_sdwa s5, v9, v10 src0_sel:DWORD src1_sel:BYTE_1
                                        ; implicit-def: $vgpr18_vgpr19
                                        ; implicit-def: $vgpr26_vgpr27
	s_and_saveexec_b32 s6, s5
	s_xor_b32 s5, exec_lo, s6
	s_cbranch_execz .LBB4_3
; %bb.2:
	flat_load_dwordx2 v[10:11], v[2:3] offset:96
	v_add_nc_u32_e32 v0, v9, v0
	v_ashrrev_i32_e32 v9, 31, v0
	v_mul_lo_u32 v12, v8, v0
	v_mad_u64_u32 v[26:27], null, v7, v0, v[5:6]
	v_mul_lo_u32 v9, v7, v9
	v_add3_u32 v27, v12, v27, v9
	s_waitcnt vmcnt(0) lgkmcnt(0)
	v_lshrrev_b64 v[18:19], 19, v[10:11]
.LBB4_3:
	s_andn2_saveexec_b32 s5, s5
	s_cbranch_execz .LBB4_5
; %bb.4:
	flat_load_dword v0, v[2:3] offset:100
	v_add_co_u32 v26, vcc_lo, v66, v5
	s_waitcnt vmcnt(1)
	v_mov_b32_e32 v7, v20
	v_add_co_ci_u32_e64 v27, null, v67, v6, vcc_lo
	v_mov_b32_e32 v8, v21
	s_waitcnt vmcnt(0) lgkmcnt(0)
	v_lshrrev_b32_e32 v18, 8, v0
.LBB4_5:
	s_or_b32 exec_lo, exec_lo, s5
.LBB4_6:
	s_andn2_saveexec_b32 s4, s4
	s_cbranch_execz .LBB4_8
; %bb.7:
	flat_load_dwordx2 v[7:8], v[2:3] offset:96
	v_mov_b32_e32 v26, 0
	v_mov_b32_e32 v27, 0
	s_waitcnt vmcnt(0) lgkmcnt(0)
	v_lshlrev_b64 v[18:19], 2, v[7:8]
	v_mov_b32_e32 v8, v6
	v_mov_b32_e32 v7, v5
.LBB4_8:
	s_or_b32 exec_lo, exec_lo, s4
	s_load_dword s4, s[8:9], 0x0
	v_mov_b32_e32 v14, 0
	s_clause 0x2
	flat_load_dwordx2 v[28:29], v[2:3] offset:104
	flat_load_ushort v16, v[2:3] offset:8
	flat_load_dword v15, v[2:3] offset:4
	v_and_b32_e32 v17, 31, v4
	s_waitcnt vmcnt(2) lgkmcnt(0)
	v_mov_b32_e32 v29, 0
	v_mov_b32_e32 v30, 0
	s_mov_b32 s6, 0
	s_cmp_lt_u32 s12, s4
	s_cselect_b32 s4, 12, 18
	s_add_u32 s4, s8, s4
	s_addc_u32 s5, s9, 0
	flat_load_dwordx4 v[9:12], v[2:3] offset:16
	global_load_ushort v0, v14, s[4:5]
	s_trap 2
	v_cmp_eq_u32_e64 s4, 0, v17
	s_waitcnt vmcnt(2)
	v_lshrrev_b64 v[2:3], 31, v[15:16]
	v_and_b32_e32 v2, 3, v2
	v_and_b32_e32 v15, 0xffff, v2
	s_waitcnt vmcnt(0)
	ds_read_b32 v13, v0
	s_waitcnt lgkmcnt(0)
	v_cmp_gt_i32_e32 vcc_lo, 0, v13
	v_readfirstlane_b32 s5, v13
	s_cbranch_vccnz .LBB4_10
; %bb.9:
	s_trap 2
	ds_read_b64 v[2:3], v0
	v_lshlrev_b64 v[13:14], 3, v[13:14]
	s_mov_b32 s6, 1
	s_waitcnt lgkmcnt(0)
	v_add_co_u32 v2, vcc_lo, v2, v13
	v_add_co_ci_u32_e64 v3, null, v3, v14, vcc_lo
	flat_load_dwordx2 v[2:3], v[2:3]
	s_waitcnt vmcnt(0) lgkmcnt(0)
	v_mad_u64_u32 v[2:3], null, 0xa8, v15, v[2:3]
	s_clause 0x1
	flat_load_dwordx2 v[34:35], v[2:3] offset:504
	flat_load_dwordx2 v[36:37], v[2:3] offset:608
	v_add_co_u32 v32, vcc_lo, 0x1f8, v2
	v_add_co_ci_u32_e64 v33, null, 0, v3, vcc_lo
	v_cndmask_b32_e64 v2, 0, v32, s4
	v_cndmask_b32_e64 v3, 0, v33, s4
	s_branch .LBB4_11
.LBB4_10:
	v_mov_b32_e32 v32, 0
	v_mov_b32_e32 v2, 0
	;; [unrolled: 1-line block ×4, first 2 shown]
                                        ; implicit-def: $vgpr36_vgpr37
                                        ; implicit-def: $vgpr34_vgpr35
.LBB4_11:
	s_trap 2
	ds_read_b32 v13, v0
	s_waitcnt lgkmcnt(0)
	v_cmp_gt_i32_e32 vcc_lo, 0, v13
	s_cbranch_vccnz .LBB4_13
; %bb.12:
	s_trap 2
	ds_read_b64 v[22:23], v0
	v_mov_b32_e32 v14, 0
	v_lshlrev_b64 v[13:14], 3, v[13:14]
	s_waitcnt lgkmcnt(0)
	v_add_co_u32 v13, vcc_lo, v22, v13
	v_add_co_ci_u32_e64 v14, null, v23, v14, vcc_lo
	v_cmp_eq_u32_e32 vcc_lo, 0, v17
	flat_load_dwordx2 v[13:14], v[13:14]
	s_waitcnt vmcnt(0) lgkmcnt(0)
	v_mad_u64_u32 v[29:30], null, 0xa8, v15, v[13:14]
	s_clause 0x1
	flat_load_dwordx2 v[38:39], v[29:30]
	flat_load_dwordx2 v[22:23], v[29:30] offset:104
	v_cndmask_b32_e32 v16, 0, v30, vcc_lo
	v_cndmask_b32_e32 v15, 0, v29, vcc_lo
	s_branch .LBB4_14
.LBB4_13:
	v_mov_b32_e32 v15, 0
	v_mov_b32_e32 v16, 0
                                        ; implicit-def: $vgpr22_vgpr23
                                        ; implicit-def: $vgpr38_vgpr39
.LBB4_14:
	v_subrev_nc_u32_e32 v13, 32, v1
	v_cmp_gt_u32_e32 vcc_lo, s6, v17
	v_mov_b32_e32 v50, 0
	v_mov_b32_e32 v51, 0
                                        ; implicit-def: $vgpr48_vgpr49
	v_cmp_ge_i32_e64 s4, v4, v13
	v_mov_b32_e32 v13, 0
	v_mov_b32_e32 v14, 0
	s_and_b32 s16, s4, vcc_lo
	s_and_saveexec_b32 s4, s16
	s_cbranch_execz .LBB4_16
; %bb.15:
	s_clause 0x1
	flat_load_dwordx2 v[50:51], v[2:3] offset:56
	flat_load_dwordx2 v[48:49], v[2:3] offset:104
.LBB4_16:
	s_or_b32 exec_lo, exec_lo, s4
	v_mov_b32_e32 v52, 0
	v_mov_b32_e32 v53, 0
	v_cmp_gt_u32_e64 s4, s6, v4
                                        ; implicit-def: $vgpr54_vgpr55
	s_and_saveexec_b32 s6, s4
	s_cbranch_execz .LBB4_18
; %bb.17:
	flat_load_dwordx2 v[52:53], v[15:16] offset:56
	s_waitcnt vmcnt(0) lgkmcnt(0)
	flat_load_dwordx2 v[54:55], v[52:53] glc dlc
	s_waitcnt vmcnt(0)
	flat_load_dwordx4 v[13:16], v[15:16] offset:96
.LBB4_18:
	s_or_b32 exec_lo, exec_lo, s6
	v_mov_b32_e32 v2, 0
	v_mov_b32_e32 v3, 0
	s_mov_b32 s17, exec_lo
	v_cmpx_ne_u64_e32 0, v[7:8]
	s_cbranch_execnz .LBB4_34
; %bb.19:
	s_or_b32 exec_lo, exec_lo, s17
	s_and_saveexec_b32 s5, s16
	s_cbranch_execnz .LBB4_206
.LBB4_20:
	s_or_b32 exec_lo, exec_lo, s5
	s_and_saveexec_b32 s5, s4
	s_cbranch_execz .LBB4_22
.LBB4_21:
	s_waitcnt vmcnt(0) lgkmcnt(0)
	flat_store_dwordx2 v[29:30], v[15:16] offset:104
.LBB4_22:
	s_or_b32 exec_lo, exec_lo, s5
	s_mov_b32 s4, exec_lo
	v_cmpx_ne_u32_e32 32, v1
	s_cbranch_execz .LBB4_213
; %bb.23:
	v_cmp_ne_u32_sdwa s5, v1, v0 src0_sel:DWORD src1_sel:WORD_0
	s_and_saveexec_b32 s6, s5
	s_xor_b32 s5, exec_lo, s6
	s_cbranch_execz .LBB4_211
; %bb.24:
	v_and_b32_e32 v0, 31, v31
	s_mov_b32 s6, exec_lo
	v_cmpx_eq_u32_e32 0, v0
	s_cbranch_execz .LBB4_210
; %bb.25:
	s_mov_b32 s8, exec_lo
	s_mov_b32 s7, exec_lo
	v_mbcnt_lo_u32_b32 v0, s8, 0
	s_waitcnt vmcnt(0) lgkmcnt(0)
	s_waitcnt_vscnt null, 0x0
	buffer_gl1_inv
	buffer_gl0_inv
	v_cmpx_eq_u32_e32 0, v0
	s_cbranch_execz .LBB4_27
; %bb.26:
	s_bcnt1_i32_b32 s8, s8
	v_mov_b32_e32 v5, 0
	v_mov_b32_e32 v4, s8
	ds_add_u64 v0, v[4:5]
	s_trap 2
.LBB4_27:
	s_or_b32 exec_lo, exec_lo, s7
	s_trap 2
	ds_read_b64 v[4:5], v0
	s_waitcnt lgkmcnt(0)
	buffer_gl0_inv
	v_lshrrev_b32_e32 v0, 5, v1
	s_mov_b32 s7, exec_lo
	v_add_co_u32 v0, vcc_lo, v2, v0
	v_add_co_ci_u32_e64 v1, null, 0, v3, vcc_lo
	v_cmpx_lt_u64_e64 v[4:5], v[0:1]
	s_cbranch_execz .LBB4_209
; %bb.28:
	s_mov_b32 s8, 0
	s_mov_b32 s11, 0
                                        ; implicit-def: $sgpr9
                                        ; implicit-def: $sgpr10
	s_inst_prefetch 0x1
	s_branch .LBB4_30
	.p2align	6
.LBB4_29:                               ;   in Loop: Header=BB4_30 Depth=1
	s_or_b32 exec_lo, exec_lo, s13
	s_and_b32 s12, exec_lo, s14
	s_or_b32 s8, s12, s8
	s_andn2_b32 s9, s9, exec_lo
	s_and_b32 s12, s10, exec_lo
	s_or_b32 s9, s9, s12
	s_andn2_b32 exec_lo, exec_lo, s8
	s_cbranch_execz .LBB4_207
.LBB4_30:                               ; =>This Inner Loop Header: Depth=1
	s_add_i32 s11, s11, 1
	s_cmpk_lg_i32 s11, 0x2710
	s_cselect_b32 s12, -1, 0
	s_and_b32 vcc_lo, exec_lo, s12
	s_cbranch_vccz .LBB4_32
; %bb.31:                               ;   in Loop: Header=BB4_30 Depth=1
	s_mov_b32 s14, -1
	s_or_b32 s10, s10, exec_lo
	s_and_saveexec_b32 s13, s12
	s_cbranch_execz .LBB4_29
	s_branch .LBB4_33
	.p2align	6
.LBB4_32:                               ;   in Loop: Header=BB4_30 Depth=1
	s_trap 2
	ds_read_b64 v[2:3], v0
	s_andn2_b32 s12, s12, exec_lo
	s_mov_b32 s11, 0
	s_waitcnt lgkmcnt(0)
	flat_load_dword v2, v[2:3] glc dlc
	s_waitcnt vmcnt(0) lgkmcnt(0)
	buffer_gl1_inv
	buffer_gl0_inv
	v_cmp_eq_u32_e32 vcc_lo, 0, v2
	s_and_b32 s13, vcc_lo, exec_lo
	s_or_b32 s12, s12, s13
	s_mov_b32 s14, -1
	s_or_b32 s10, s10, exec_lo
	s_and_saveexec_b32 s13, s12
	s_cbranch_execz .LBB4_29
.LBB4_33:                               ;   in Loop: Header=BB4_30 Depth=1
	s_sleep 1
	s_trap 2
	ds_read_b64 v[2:3], v0
	s_waitcnt lgkmcnt(0)
	buffer_gl0_inv
	s_andn2_b32 s10, s10, exec_lo
	v_cmp_ge_u64_e32 vcc_lo, v[2:3], v[0:1]
	s_orn2_b32 s14, vcc_lo, exec_lo
	s_branch .LBB4_29
.LBB4_34:
	s_ashr_i32 s6, s5, 31
	v_mov_b32_e32 v17, 0
	s_lshr_b32 s6, s6, 29
	s_ashr_i32 s15, s14, 31
	s_add_i32 s5, s5, s6
	v_add_co_u32 v2, vcc_lo, v20, v5
	s_lshl_b64 s[6:7], s[14:15], 2
	v_add_co_ci_u32_e64 v3, null, v21, v6, vcc_lo
	v_add_co_u32 v5, vcc_lo, v24, s6
	v_lshlrev_b32_e32 v80, 1, v4
	v_mov_b32_e32 v81, v17
	v_add_co_ci_u32_e64 v6, null, s7, v25, vcc_lo
	v_add_co_u32 v66, vcc_lo, v2, v66
	v_add_co_ci_u32_e64 v67, null, v3, v67, vcc_lo
	v_add_co_u32 v68, vcc_lo, v5, -4
	v_mov_b32_e32 v5, v17
	v_and_b32_e32 v2, 31, v31
	v_lshlrev_b64 v[81:82], 2, v[80:81]
	s_ashr_i32 s8, s5, 3
	v_lshlrev_b64 v[85:86], 2, v[26:27]
	v_lshlrev_b64 v[19:20], 3, v[4:5]
	s_and_b32 s15, s8, -16
	v_cmp_eq_u32_e64 s8, 0, v2
	v_and_b32_e32 v2, 3, v9
	v_mov_b32_e32 v3, v17
	v_add_co_ci_u32_e64 v69, null, -1, v6, vcc_lo
	v_add_co_u32 v116, vcc_lo, v11, v81
	v_add_co_ci_u32_e64 v117, null, v12, v82, vcc_lo
	v_add_co_u32 v118, vcc_lo, v9, v81
	v_add_co_ci_u32_e64 v119, null, v10, v82, vcc_lo
	v_cmp_eq_u64_e64 s10, 0, v[2:3]
	v_add_co_u32 v2, vcc_lo, v19, v85
	v_lshlrev_b64 v[9:10], 4, v[4:5]
	v_add_co_ci_u32_e64 v3, null, v20, v86, vcc_lo
	v_lshlrev_b32_e32 v6, 2, v18
	v_add_co_u32 v40, vcc_lo, v11, v2
	v_mov_b32_e32 v2, v17
	v_add_co_ci_u32_e64 v41, null, v12, v3, vcc_lo
	s_waitcnt vmcnt(1) lgkmcnt(1)
	v_add_co_u32 v43, vcc_lo, v38, v9
	s_ashr_i32 s18, s5, 7
	v_mov_b32_e32 v70, 0
	v_cmp_ne_u64_e64 s5, 0, v[52:53]
	s_waitcnt vmcnt(0) lgkmcnt(0)
	v_cmp_ne_u64_e64 s6, 0, v[13:14]
	v_cmp_ne_u64_e64 s9, 0, v[50:51]
	v_and_b32_e32 v42, 0x1fffff0, v6
	v_lshlrev_b64 v[5:6], 2, v[66:67]
	v_add_co_ci_u32_e64 v44, null, v39, v10, vcc_lo
	v_lshlrev_b64 v[9:10], 3, v[1:2]
	v_lshlrev_b64 v[85:86], 4, v[1:2]
	v_mov_b32_e32 v2, 0
	v_and_b32_e32 v64, 0x7ffffc, v18
	v_mov_b32_e32 v65, v17
	v_mov_b32_e32 v71, 0
	v_cmp_ne_u32_e64 s7, 32, v1
	v_cmp_ne_u32_sdwa s19, v1, v0 src0_sel:DWORD src1_sel:WORD_0
	v_lshrrev_b32_e32 v87, 5, v1
	v_lshlrev_b32_e32 v83, 1, v1
	v_mov_b32_e32 v84, v17
	v_mov_b32_e32 v45, 1
	;; [unrolled: 1-line block ×4, first 2 shown]
	s_cmp_gt_i32 s14, 2
	s_mov_b32 s13, 0
	s_cselect_b32 s21, -1, 0
	s_mov_b32 s20, 0
	s_branch .LBB4_36
.LBB4_35:                               ;   in Loop: Header=BB4_36 Depth=1
	s_or_b32 exec_lo, exec_lo, s11
	v_add_co_u32 v70, vcc_lo, v70, v64
	v_add_co_ci_u32_e64 v71, null, 0, v71, vcc_lo
	v_add_co_u32 v36, vcc_lo, v36, 1
	v_add_co_ci_u32_e64 v37, null, 0, v37, vcc_lo
	v_cmp_ge_u64_e32 vcc_lo, v[70:71], v[7:8]
	v_add_co_u32 v40, s11, v40, v42
	v_add_co_ci_u32_e64 v41, null, 0, v41, s11
	s_or_b32 s20, vcc_lo, s20
	s_andn2_b32 exec_lo, exec_lo, s20
	s_cbranch_execz .LBB4_205
.LBB4_36:                               ; =>This Loop Header: Depth=1
                                        ;     Child Loop BB4_41 Depth 2
                                        ;     Child Loop BB4_60 Depth 2
	;; [unrolled: 1-line block ×5, first 2 shown]
                                        ;       Child Loop BB4_88 Depth 3
                                        ;       Child Loop BB4_107 Depth 3
	;; [unrolled: 1-line block ×3, first 2 shown]
                                        ;         Child Loop BB4_135 Depth 4
                                        ;       Child Loop BB4_149 Depth 3
                                        ;       Child Loop BB4_124 Depth 3
                                        ;     Child Loop BB4_165 Depth 2
                                        ;       Child Loop BB4_171 Depth 3
                                        ;     Child Loop BB4_193 Depth 2
	flat_load_dword v20, v[68:69]
	v_sub_co_u32 v18, vcc_lo, v7, v70
	v_sub_co_ci_u32_e64 v19, null, v8, v71, vcc_lo
	v_cmp_lt_u64_e32 vcc_lo, v[64:65], v[18:19]
	v_cndmask_b32_e32 v21, v18, v64, vcc_lo
	v_lshl_add_u32 v18, v21, 3, 8
	v_and_b32_e32 v47, 0x7fffff0, v18
	s_and_saveexec_b32 s12, s5
	s_cbranch_execz .LBB4_52
; %bb.37:                               ;   in Loop: Header=BB4_36 Depth=1
	v_add_co_u32 v18, vcc_lo, v15, 1
	v_add_co_ci_u32_e64 v19, null, 0, v16, vcc_lo
	v_add_co_u32 v96, vcc_lo, v54, 8
	v_add_co_ci_u32_e64 v97, null, 0, v55, vcc_lo
	s_mov_b32 s22, exec_lo
	v_cmpx_lt_u64_e64 v[96:97], v[18:19]
	s_cbranch_execz .LBB4_49
; %bb.38:                               ;   in Loop: Header=BB4_36 Depth=1
	s_mov_b32 s23, 0
	s_mov_b32 s27, 0
	v_cmp_eq_u32_e32 vcc_lo, 0, v46
                                        ; implicit-def: $sgpr24
                                        ; implicit-def: $sgpr25
                                        ; implicit-def: $sgpr26
	s_branch .LBB4_41
.LBB4_39:                               ;   in Loop: Header=BB4_41 Depth=2
	s_or_b32 exec_lo, exec_lo, s42
	s_andn2_b32 s11, s26, exec_lo
	s_and_b32 s26, s40, exec_lo
	s_andn2_b32 s25, s25, exec_lo
	s_and_b32 s29, s29, exec_lo
	s_or_b32 s26, s11, s26
	s_or_b32 s25, s25, s29
.LBB4_40:                               ;   in Loop: Header=BB4_41 Depth=2
	s_or_b32 exec_lo, exec_lo, s28
	s_and_b32 s11, exec_lo, s25
	s_or_b32 s23, s11, s23
	s_andn2_b32 s11, s24, exec_lo
	s_and_b32 s24, s26, exec_lo
	s_or_b32 s24, s11, s24
	s_andn2_b32 exec_lo, exec_lo, s23
	s_cbranch_execz .LBB4_46
.LBB4_41:                               ;   Parent Loop BB4_36 Depth=1
                                        ; =>  This Inner Loop Header: Depth=2
	s_sleep 1
	s_waitcnt vmcnt(0) lgkmcnt(0)
	flat_load_dwordx2 v[54:55], v[52:53] glc dlc
	v_mov_b32_e32 v46, 1
	s_or_b32 s26, s26, exec_lo
	s_or_b32 s25, s25, exec_lo
                                        ; implicit-def: $vgpr16
	s_and_saveexec_b32 s28, vcc_lo
	s_cbranch_execz .LBB4_40
; %bb.42:                               ;   in Loop: Header=BB4_41 Depth=2
	s_add_i32 s27, s27, 1
	s_mov_b32 s29, -1
	s_cmpk_lg_i32 s27, 0x2710
	s_mov_b32 s40, -1
	s_cselect_b32 s41, -1, 0
	s_cmpk_eq_i32 s27, 0x2710
                                        ; implicit-def: $vgpr16
	s_cbranch_scc1 .LBB4_44
; %bb.43:                               ;   in Loop: Header=BB4_41 Depth=2
	v_mov_b32_e32 v46, 1
	s_and_saveexec_b32 s42, s41
	s_cbranch_execz .LBB4_39
	s_branch .LBB4_45
.LBB4_44:                               ;   in Loop: Header=BB4_41 Depth=2
	s_trap 2
	ds_read_b64 v[96:97], v0
	s_andn2_b32 s27, s41, exec_lo
	s_mov_b32 s40, 0
	s_waitcnt vmcnt(0) lgkmcnt(0)
	s_waitcnt_vscnt null, 0x0
	flat_load_dword v16, v[96:97] glc dlc
	s_waitcnt vmcnt(0) lgkmcnt(0)
	buffer_gl1_inv
	buffer_gl0_inv
	v_cmp_eq_u32_e64 s11, 0, v16
	s_and_b32 s11, s11, exec_lo
	s_or_b32 s41, s27, s11
	s_mov_b32 s27, 0
	v_mov_b32_e32 v46, 1
	s_and_saveexec_b32 s42, s41
	s_cbranch_execz .LBB4_39
.LBB4_45:                               ;   in Loop: Header=BB4_41 Depth=2
	s_waitcnt vmcnt(0) lgkmcnt(0)
	v_add_co_u32 v96, s11, v54, 8
	v_add_co_ci_u32_e64 v97, null, 0, v55, s11
	v_mov_b32_e32 v46, 0
	s_or_b32 s40, s40, exec_lo
	v_cmp_ge_u64_e64 s11, v[96:97], v[18:19]
	s_orn2_b32 s29, s11, exec_lo
	s_branch .LBB4_39
.LBB4_46:                               ;   in Loop: Header=BB4_36 Depth=1
	s_or_b32 exec_lo, exec_lo, s23
	s_xor_b32 s11, s24, -1
	s_and_saveexec_b32 s23, s11
	s_xor_b32 s11, exec_lo, s23
	s_cbranch_execz .LBB4_48
; %bb.47:                               ;   in Loop: Header=BB4_36 Depth=1
	v_mov_b32_e32 v46, 1
	s_waitcnt vmcnt(0) lgkmcnt(0)
	s_waitcnt_vscnt null, 0x0
	ds_write_b32 v0, v16
	s_trap 2
.LBB4_48:                               ;   in Loop: Header=BB4_36 Depth=1
	s_or_b32 exec_lo, exec_lo, s11
.LBB4_49:                               ;   in Loop: Header=BB4_36 Depth=1
	s_or_b32 exec_lo, exec_lo, s22
	s_and_saveexec_b32 s11, s6
	s_cbranch_execz .LBB4_51
; %bb.50:                               ;   in Loop: Header=BB4_36 Depth=1
	v_and_b32_e32 v96, 0x7ffffff8, v15
	v_mov_b32_e32 v97, v17
	v_and_b32_e32 v16, 7, v15
	v_cmp_eq_u64_e32 vcc_lo, 0x7ffffff8, v[96:97]
	v_mad_u64_u32 v[96:97], null, v16, 24, v[13:14]
	v_cndmask_b32_e64 v15, v47, s15, vcc_lo
	v_ashrrev_i32_e32 v16, 31, v15
	flat_store_dwordx2 v[96:97], v[15:16] offset:8
	s_waitcnt_vscnt null, 0x0
.LBB4_51:                               ;   in Loop: Header=BB4_36 Depth=1
	s_or_b32 exec_lo, exec_lo, s11
	v_mov_b32_e32 v15, v18
	v_mov_b32_e32 v16, v19
.LBB4_52:                               ;   in Loop: Header=BB4_36 Depth=1
	s_or_b32 exec_lo, exec_lo, s12
	s_and_saveexec_b32 s11, s7
	s_cbranch_execz .LBB4_71
; %bb.53:                               ;   in Loop: Header=BB4_36 Depth=1
	s_and_saveexec_b32 s12, s19
	s_xor_b32 s12, exec_lo, s12
	s_cbranch_execz .LBB4_68
; %bb.54:                               ;   in Loop: Header=BB4_36 Depth=1
	s_and_saveexec_b32 s22, s8
	s_cbranch_execz .LBB4_67
; %bb.55:                               ;   in Loop: Header=BB4_36 Depth=1
	s_mov_b32 s24, exec_lo
	s_mov_b32 s23, exec_lo
	v_mbcnt_lo_u32_b32 v18, s24, 0
	s_waitcnt vmcnt(0) lgkmcnt(0)
	s_waitcnt_vscnt null, 0x0
	buffer_gl1_inv
	buffer_gl0_inv
	v_cmpx_eq_u32_e32 0, v18
	s_cbranch_execz .LBB4_57
; %bb.56:                               ;   in Loop: Header=BB4_36 Depth=1
	s_bcnt1_i32_b32 s24, s24
	v_mov_b32_e32 v19, v17
	v_mov_b32_e32 v18, s24
	ds_add_u64 v0, v[18:19]
	s_trap 2
.LBB4_57:                               ;   in Loop: Header=BB4_36 Depth=1
	s_or_b32 exec_lo, exec_lo, s23
	s_trap 2
	ds_read_b64 v[18:19], v0
	s_waitcnt lgkmcnt(0)
	buffer_gl0_inv
	v_add_co_u32 v2, vcc_lo, v2, v87
	v_add_co_ci_u32_e64 v3, null, 0, v3, vcc_lo
	s_mov_b32 s23, exec_lo
	v_cmpx_lt_u64_e64 v[18:19], v[2:3]
	s_cbranch_execz .LBB4_66
; %bb.58:                               ;   in Loop: Header=BB4_36 Depth=1
	s_mov_b32 s24, 0
	s_mov_b32 s27, 0
                                        ; implicit-def: $sgpr25
                                        ; implicit-def: $sgpr26
	s_inst_prefetch 0x1
	s_branch .LBB4_60
	.p2align	6
.LBB4_59:                               ;   in Loop: Header=BB4_60 Depth=2
	s_or_b32 exec_lo, exec_lo, s29
	s_and_b32 s28, exec_lo, s40
	s_or_b32 s24, s28, s24
	s_andn2_b32 s25, s25, exec_lo
	s_and_b32 s28, s26, exec_lo
	s_or_b32 s25, s25, s28
	s_andn2_b32 exec_lo, exec_lo, s24
	s_cbranch_execz .LBB4_64
.LBB4_60:                               ;   Parent Loop BB4_36 Depth=1
                                        ; =>  This Inner Loop Header: Depth=2
	s_add_i32 s27, s27, 1
	s_cmpk_lg_i32 s27, 0x2710
	s_cselect_b32 s28, -1, 0
	s_and_b32 vcc_lo, exec_lo, s28
	s_cbranch_vccz .LBB4_62
; %bb.61:                               ;   in Loop: Header=BB4_60 Depth=2
	s_mov_b32 s40, -1
	s_or_b32 s26, s26, exec_lo
	s_and_saveexec_b32 s29, s28
	s_cbranch_execz .LBB4_59
	s_branch .LBB4_63
	.p2align	6
.LBB4_62:                               ;   in Loop: Header=BB4_60 Depth=2
	s_trap 2
	ds_read_b64 v[18:19], v0
	s_andn2_b32 s28, s28, exec_lo
	s_mov_b32 s27, 0
	s_waitcnt lgkmcnt(0)
	flat_load_dword v18, v[18:19] glc dlc
	s_waitcnt vmcnt(0) lgkmcnt(0)
	buffer_gl1_inv
	buffer_gl0_inv
	v_cmp_eq_u32_e32 vcc_lo, 0, v18
	s_and_b32 s29, vcc_lo, exec_lo
	s_or_b32 s28, s28, s29
	s_mov_b32 s40, -1
	s_or_b32 s26, s26, exec_lo
	s_and_saveexec_b32 s29, s28
	s_cbranch_execz .LBB4_59
.LBB4_63:                               ;   in Loop: Header=BB4_60 Depth=2
	s_sleep 1
	s_trap 2
	ds_read_b64 v[18:19], v0
	s_waitcnt lgkmcnt(0)
	buffer_gl0_inv
	s_andn2_b32 s26, s26, exec_lo
	v_cmp_ge_u64_e32 vcc_lo, v[18:19], v[2:3]
	s_orn2_b32 s40, vcc_lo, exec_lo
	s_branch .LBB4_59
.LBB4_64:                               ;   in Loop: Header=BB4_36 Depth=1
	s_inst_prefetch 0x2
	s_or_b32 exec_lo, exec_lo, s24
	s_and_saveexec_b32 s24, s25
	s_xor_b32 s24, exec_lo, s24
	s_cbranch_execz .LBB4_66
; %bb.65:                               ;   in Loop: Header=BB4_36 Depth=1
	ds_write_b32 v0, v45
	s_trap 2
.LBB4_66:                               ;   in Loop: Header=BB4_36 Depth=1
	s_or_b32 exec_lo, exec_lo, s23
	;;#ASMSTART
	s_wakeup
	;;#ASMEND
.LBB4_67:                               ;   in Loop: Header=BB4_36 Depth=1
	s_or_b32 exec_lo, exec_lo, s22
.LBB4_68:                               ;   in Loop: Header=BB4_36 Depth=1
	s_andn2_saveexec_b32 s12, s12
	s_cbranch_execz .LBB4_70
; %bb.69:                               ;   in Loop: Header=BB4_36 Depth=1
	s_waitcnt vmcnt(0) lgkmcnt(0)
	s_waitcnt_vscnt null, 0x0
	buffer_gl1_inv
	buffer_gl0_inv
	s_barrier
.LBB4_70:                               ;   in Loop: Header=BB4_36 Depth=1
	s_or_b32 exec_lo, exec_lo, s12
.LBB4_71:                               ;   in Loop: Header=BB4_36 Depth=1
	s_or_b32 exec_lo, exec_lo, s11
	v_sub_nc_u32_e32 v56, v21, v80
	v_and_b32_e32 v101, 7, v22
	v_add_nc_u32_e32 v19, 1, v22
	v_mov_b32_e32 v96, v4
	v_cmp_lt_i32_e64 s11, 0, v56
	s_and_saveexec_b32 s22, s11
	s_cbranch_execz .LBB4_77
; %bb.72:                               ;   in Loop: Header=BB4_36 Depth=1
	v_mul_lo_u32 v99, v101, s18
	s_waitcnt vmcnt(0) lgkmcnt(0)
	v_ashrrev_i32_e32 v18, 31, v20
	v_mul_lo_u32 v96, v6, v20
	v_mad_u64_u32 v[97:98], null, v5, v20, 0
	v_mov_b32_e32 v102, v56
	v_mul_lo_u32 v18, v5, v18
	s_mov_b32 s23, 0
	v_ashrrev_i32_e32 v100, 31, v99
                                        ; implicit-def: $vgpr103
	v_lshlrev_b64 v[20:21], 4, v[99:100]
	v_add3_u32 v98, v98, v18, v96
	v_mov_b32_e32 v96, v4
	v_add_co_u32 v99, vcc_lo, v43, v20
	v_add_co_ci_u32_e64 v100, null, v44, v21, vcc_lo
	s_inst_prefetch 0x1
	s_branch .LBB4_74
	.p2align	6
.LBB4_73:                               ;   in Loop: Header=BB4_74 Depth=2
	s_or_b32 exec_lo, exec_lo, s12
	s_waitcnt vmcnt(0)
	v_mov_b32_e32 v20, v103
	v_mov_b32_e32 v21, v19
	v_sub_nc_u32_e32 v102, v102, v83
	v_add_co_u32 v97, vcc_lo, v97, v9
	v_add_co_ci_u32_e64 v98, null, v98, v10, vcc_lo
	global_store_dwordx4 v[99:100], v[18:21], off
	v_cmp_gt_i32_e32 vcc_lo, 1, v102
	v_add_co_u32 v99, s12, v99, v85
	v_add_nc_u32_e32 v96, v96, v1
	v_add_co_ci_u32_e64 v100, null, v100, v86, s12
	s_or_b32 s23, vcc_lo, s23
	s_andn2_b32 exec_lo, exec_lo, s23
	s_cbranch_execz .LBB4_76
.LBB4_74:                               ;   Parent Loop BB4_36 Depth=1
                                        ; =>  This Inner Loop Header: Depth=2
	v_add_co_u32 v20, vcc_lo, v40, v97
	v_add_co_ci_u32_e64 v21, null, v41, v98, vcc_lo
	s_mov_b32 s12, exec_lo
	global_load_dword v18, v[20:21], off slc
	v_cmpx_ne_u32_e32 1, v102
	s_cbranch_execz .LBB4_73
; %bb.75:                               ;   in Loop: Header=BB4_74 Depth=2
	global_load_dword v103, v[20:21], off offset:4 slc
	s_branch .LBB4_73
.LBB4_76:                               ;   in Loop: Header=BB4_36 Depth=1
	s_inst_prefetch 0x2
	s_or_b32 exec_lo, exec_lo, s23
.LBB4_77:                               ;   in Loop: Header=BB4_36 Depth=1
	s_or_b32 exec_lo, exec_lo, s22
	s_waitcnt vmcnt(0) lgkmcnt(0)
	v_and_b32_e32 v20, 0x7ffffff8, v22
	v_mov_b32_e32 v21, v17
	v_cmp_gt_i32_e64 s12, s18, v96
	v_cmp_eq_u64_e32 vcc_lo, 0x7ffffff8, v[20:21]
	s_and_b32 s12, vcc_lo, s12
	s_and_saveexec_b32 s22, s12
	s_cbranch_execz .LBB4_80
; %bb.78:                               ;   in Loop: Header=BB4_36 Depth=1
	v_mul_lo_u32 v20, v101, s18
	v_ashrrev_i32_e32 v97, 31, v96
	v_mov_b32_e32 v18, v19
	s_mov_b32 s23, 0
	v_lshlrev_b64 v[97:98], 4, v[96:97]
	v_ashrrev_i32_e32 v21, 31, v20
	v_lshlrev_b64 v[20:21], 4, v[20:21]
	v_add_co_u32 v20, vcc_lo, v97, v20
	v_add_co_ci_u32_e64 v21, null, v98, v21, vcc_lo
	v_add_co_u32 v97, vcc_lo, v38, v20
	v_add_co_ci_u32_e64 v98, null, v39, v21, vcc_lo
.LBB4_79:                               ;   Parent Loop BB4_36 Depth=1
                                        ; =>  This Inner Loop Header: Depth=2
	v_mov_b32_e32 v19, v17
	v_add_nc_u32_e32 v96, v96, v1
	v_mov_b32_e32 v20, v18
	v_cmp_le_i32_e32 vcc_lo, s18, v96
	global_store_dwordx4 v[97:98], v[17:20], off
	v_add_co_u32 v97, s12, v97, v85
	v_add_co_ci_u32_e64 v98, null, v98, v86, s12
	s_or_b32 s23, vcc_lo, s23
	s_andn2_b32 exec_lo, exec_lo, s23
	s_cbranch_execnz .LBB4_79
.LBB4_80:                               ;   in Loop: Header=BB4_36 Depth=1
	s_or_b32 exec_lo, exec_lo, s22
	v_add_co_u32 v18, vcc_lo, v70, v26
	v_add_co_ci_u32_e64 v19, null, v71, v27, vcc_lo
	v_add_co_u32 v98, vcc_lo, v22, 1
	v_add_co_ci_u32_e64 v99, null, 0, v23, vcc_lo
	v_lshlrev_b64 v[96:97], 2, v[18:19]
	s_andn2_b32 vcc_lo, exec_lo, s21
	s_cbranch_vccnz .LBB4_160
; %bb.81:                               ;   in Loop: Header=BB4_36 Depth=1
	v_add_co_u32 v57, vcc_lo, v116, v96
	v_add_co_ci_u32_e64 v58, null, v117, v97, vcc_lo
	v_add_nc_u16 v59, v22, 1
	s_mov_b32 s22, 2
	s_branch .LBB4_83
.LBB4_82:                               ;   in Loop: Header=BB4_83 Depth=2
	s_or_b32 exec_lo, exec_lo, s23
	v_add_co_u32 v36, vcc_lo, v36, 1
	v_add_co_ci_u32_e64 v37, null, 0, v37, vcc_lo
	v_add_co_u32 v98, vcc_lo, v98, 1
	v_add_co_ci_u32_e64 v99, null, 0, v99, vcc_lo
	v_add_nc_u16 v59, v59, 1
	s_add_i32 s22, s22, 1
	s_cmp_eq_u32 s22, s14
	s_cbranch_scc1 .LBB4_160
.LBB4_83:                               ;   Parent Loop BB4_36 Depth=1
                                        ; =>  This Loop Header: Depth=2
                                        ;       Child Loop BB4_88 Depth 3
                                        ;       Child Loop BB4_107 Depth 3
	;; [unrolled: 1-line block ×3, first 2 shown]
                                        ;         Child Loop BB4_135 Depth 4
                                        ;       Child Loop BB4_149 Depth 3
                                        ;       Child Loop BB4_124 Depth 3
	s_sub_i32 s12, s14, s22
	s_lshl_b64 s[24:25], s[12:13], 2
	v_add_co_u32 v18, vcc_lo, v24, s24
	v_add_co_ci_u32_e64 v19, null, s25, v25, vcc_lo
	flat_load_dword v20, v[18:19]
	s_and_saveexec_b32 s23, s5
	s_cbranch_execz .LBB4_99
; %bb.84:                               ;   in Loop: Header=BB4_83 Depth=2
	v_add_co_u32 v18, vcc_lo, v15, 1
	v_add_co_ci_u32_e64 v19, null, 0, v16, vcc_lo
	v_add_co_u32 v21, vcc_lo, v54, 8
	v_add_co_ci_u32_e64 v22, null, 0, v55, vcc_lo
	s_mov_b32 s24, exec_lo
	v_cmpx_lt_u64_e64 v[21:22], v[18:19]
	s_cbranch_execz .LBB4_96
; %bb.85:                               ;   in Loop: Header=BB4_83 Depth=2
	s_mov_b32 s25, 0
	s_mov_b32 s29, 0
	v_cmp_eq_u32_e32 vcc_lo, 0, v46
                                        ; implicit-def: $sgpr26
                                        ; implicit-def: $sgpr27
                                        ; implicit-def: $sgpr28
	s_branch .LBB4_88
.LBB4_86:                               ;   in Loop: Header=BB4_88 Depth=3
	s_or_b32 exec_lo, exec_lo, s44
	s_andn2_b32 s12, s28, exec_lo
	s_and_b32 s28, s42, exec_lo
	s_andn2_b32 s27, s27, exec_lo
	s_and_b32 s41, s41, exec_lo
	s_or_b32 s28, s12, s28
	s_or_b32 s27, s27, s41
.LBB4_87:                               ;   in Loop: Header=BB4_88 Depth=3
	s_or_b32 exec_lo, exec_lo, s40
	s_and_b32 s12, exec_lo, s27
	s_or_b32 s25, s12, s25
	s_andn2_b32 s12, s26, exec_lo
	s_and_b32 s26, s28, exec_lo
	s_or_b32 s26, s12, s26
	s_andn2_b32 exec_lo, exec_lo, s25
	s_cbranch_execz .LBB4_93
.LBB4_88:                               ;   Parent Loop BB4_36 Depth=1
                                        ;     Parent Loop BB4_83 Depth=2
                                        ; =>    This Inner Loop Header: Depth=3
	s_sleep 1
	s_waitcnt vmcnt(0) lgkmcnt(0)
	flat_load_dwordx2 v[54:55], v[52:53] glc dlc
	v_mov_b32_e32 v46, 1
	s_or_b32 s28, s28, exec_lo
	s_or_b32 s27, s27, exec_lo
                                        ; implicit-def: $vgpr16
	s_and_saveexec_b32 s40, vcc_lo
	s_cbranch_execz .LBB4_87
; %bb.89:                               ;   in Loop: Header=BB4_88 Depth=3
	s_add_i32 s29, s29, 1
	s_mov_b32 s41, -1
	s_cmpk_lg_i32 s29, 0x2710
	s_mov_b32 s42, -1
	s_cselect_b32 s43, -1, 0
	s_cmpk_eq_i32 s29, 0x2710
                                        ; implicit-def: $vgpr16
	s_cbranch_scc1 .LBB4_91
; %bb.90:                               ;   in Loop: Header=BB4_88 Depth=3
	v_mov_b32_e32 v46, 1
	s_and_saveexec_b32 s44, s43
	s_cbranch_execz .LBB4_86
	s_branch .LBB4_92
.LBB4_91:                               ;   in Loop: Header=BB4_88 Depth=3
	s_trap 2
	ds_read_b64 v[21:22], v0
	s_andn2_b32 s29, s43, exec_lo
	s_mov_b32 s42, 0
	s_waitcnt vmcnt(0) lgkmcnt(0)
	s_waitcnt_vscnt null, 0x0
	flat_load_dword v16, v[21:22] glc dlc
	s_waitcnt vmcnt(0) lgkmcnt(0)
	buffer_gl1_inv
	buffer_gl0_inv
	v_cmp_eq_u32_e64 s12, 0, v16
	s_and_b32 s12, s12, exec_lo
	s_or_b32 s43, s29, s12
	s_mov_b32 s29, 0
	v_mov_b32_e32 v46, 1
	s_and_saveexec_b32 s44, s43
	s_cbranch_execz .LBB4_86
.LBB4_92:                               ;   in Loop: Header=BB4_88 Depth=3
	s_waitcnt vmcnt(0) lgkmcnt(0)
	v_add_co_u32 v21, s12, v54, 8
	v_add_co_ci_u32_e64 v22, null, 0, v55, s12
	v_mov_b32_e32 v46, 0
	s_or_b32 s42, s42, exec_lo
	v_cmp_ge_u64_e64 s12, v[21:22], v[18:19]
	s_orn2_b32 s41, s12, exec_lo
	s_branch .LBB4_86
.LBB4_93:                               ;   in Loop: Header=BB4_83 Depth=2
	s_or_b32 exec_lo, exec_lo, s25
	s_xor_b32 s12, s26, -1
	s_and_saveexec_b32 s25, s12
	s_xor_b32 s12, exec_lo, s25
	s_cbranch_execz .LBB4_95
; %bb.94:                               ;   in Loop: Header=BB4_83 Depth=2
	v_mov_b32_e32 v46, 1
	s_waitcnt vmcnt(0) lgkmcnt(0)
	s_waitcnt_vscnt null, 0x0
	ds_write_b32 v0, v16
	s_trap 2
.LBB4_95:                               ;   in Loop: Header=BB4_83 Depth=2
	s_or_b32 exec_lo, exec_lo, s12
.LBB4_96:                               ;   in Loop: Header=BB4_83 Depth=2
	s_or_b32 exec_lo, exec_lo, s24
	s_and_saveexec_b32 s12, s6
	s_cbranch_execz .LBB4_98
; %bb.97:                               ;   in Loop: Header=BB4_83 Depth=2
	v_and_b32_e32 v21, 0x7ffffff8, v15
	v_mov_b32_e32 v22, v17
	v_and_b32_e32 v16, 7, v15
	v_cmp_eq_u64_e32 vcc_lo, 0x7ffffff8, v[21:22]
	v_mad_u64_u32 v[21:22], null, v16, 24, v[13:14]
	v_cndmask_b32_e64 v15, v47, s15, vcc_lo
	v_ashrrev_i32_e32 v16, 31, v15
	flat_store_dwordx2 v[21:22], v[15:16] offset:8
	s_waitcnt_vscnt null, 0x0
.LBB4_98:                               ;   in Loop: Header=BB4_83 Depth=2
	s_or_b32 exec_lo, exec_lo, s12
	v_mov_b32_e32 v15, v18
	v_mov_b32_e32 v16, v19
.LBB4_99:                               ;   in Loop: Header=BB4_83 Depth=2
	s_or_b32 exec_lo, exec_lo, s23
	s_and_saveexec_b32 s12, s7
	s_cbranch_execz .LBB4_118
; %bb.100:                              ;   in Loop: Header=BB4_83 Depth=2
	s_and_saveexec_b32 s23, s19
	s_xor_b32 s23, exec_lo, s23
	s_cbranch_execz .LBB4_115
; %bb.101:                              ;   in Loop: Header=BB4_83 Depth=2
	s_and_saveexec_b32 s24, s8
	s_cbranch_execz .LBB4_114
; %bb.102:                              ;   in Loop: Header=BB4_83 Depth=2
	s_mov_b32 s26, exec_lo
	s_mov_b32 s25, exec_lo
	v_mbcnt_lo_u32_b32 v18, s26, 0
	s_waitcnt vmcnt(0) lgkmcnt(0)
	s_waitcnt_vscnt null, 0x0
	buffer_gl1_inv
	buffer_gl0_inv
	v_cmpx_eq_u32_e32 0, v18
	s_cbranch_execz .LBB4_104
; %bb.103:                              ;   in Loop: Header=BB4_83 Depth=2
	s_bcnt1_i32_b32 s26, s26
	v_mov_b32_e32 v19, v17
	v_mov_b32_e32 v18, s26
	ds_add_u64 v0, v[18:19]
	s_trap 2
.LBB4_104:                              ;   in Loop: Header=BB4_83 Depth=2
	s_or_b32 exec_lo, exec_lo, s25
	s_trap 2
	ds_read_b64 v[18:19], v0
	s_waitcnt lgkmcnt(0)
	buffer_gl0_inv
	v_add_co_u32 v2, vcc_lo, v2, v87
	v_add_co_ci_u32_e64 v3, null, 0, v3, vcc_lo
	s_mov_b32 s25, exec_lo
	v_cmpx_lt_u64_e64 v[18:19], v[2:3]
	s_cbranch_execz .LBB4_113
; %bb.105:                              ;   in Loop: Header=BB4_83 Depth=2
	s_mov_b32 s26, 0
	s_mov_b32 s29, 0
                                        ; implicit-def: $sgpr27
                                        ; implicit-def: $sgpr28
	s_inst_prefetch 0x1
	s_branch .LBB4_107
	.p2align	6
.LBB4_106:                              ;   in Loop: Header=BB4_107 Depth=3
	s_or_b32 exec_lo, exec_lo, s41
	s_and_b32 s40, exec_lo, s42
	s_or_b32 s26, s40, s26
	s_andn2_b32 s27, s27, exec_lo
	s_and_b32 s40, s28, exec_lo
	s_or_b32 s27, s27, s40
	s_andn2_b32 exec_lo, exec_lo, s26
	s_cbranch_execz .LBB4_111
.LBB4_107:                              ;   Parent Loop BB4_36 Depth=1
                                        ;     Parent Loop BB4_83 Depth=2
                                        ; =>    This Inner Loop Header: Depth=3
	s_add_i32 s29, s29, 1
	s_cmpk_lg_i32 s29, 0x2710
	s_cselect_b32 s40, -1, 0
	s_and_b32 vcc_lo, exec_lo, s40
	s_cbranch_vccz .LBB4_109
; %bb.108:                              ;   in Loop: Header=BB4_107 Depth=3
	s_mov_b32 s42, -1
	s_or_b32 s28, s28, exec_lo
	s_and_saveexec_b32 s41, s40
	s_cbranch_execz .LBB4_106
	s_branch .LBB4_110
	.p2align	6
.LBB4_109:                              ;   in Loop: Header=BB4_107 Depth=3
	s_trap 2
	ds_read_b64 v[18:19], v0
	s_andn2_b32 s40, s40, exec_lo
	s_mov_b32 s29, 0
	s_waitcnt lgkmcnt(0)
	flat_load_dword v18, v[18:19] glc dlc
	s_waitcnt vmcnt(0) lgkmcnt(0)
	buffer_gl1_inv
	buffer_gl0_inv
	v_cmp_eq_u32_e32 vcc_lo, 0, v18
	s_and_b32 s41, vcc_lo, exec_lo
	s_or_b32 s40, s40, s41
	s_mov_b32 s42, -1
	s_or_b32 s28, s28, exec_lo
	s_and_saveexec_b32 s41, s40
	s_cbranch_execz .LBB4_106
.LBB4_110:                              ;   in Loop: Header=BB4_107 Depth=3
	s_sleep 1
	s_trap 2
	ds_read_b64 v[18:19], v0
	s_waitcnt lgkmcnt(0)
	buffer_gl0_inv
	s_andn2_b32 s28, s28, exec_lo
	v_cmp_ge_u64_e32 vcc_lo, v[18:19], v[2:3]
	s_orn2_b32 s42, vcc_lo, exec_lo
	s_branch .LBB4_106
.LBB4_111:                              ;   in Loop: Header=BB4_83 Depth=2
	s_inst_prefetch 0x2
	s_or_b32 exec_lo, exec_lo, s26
	s_and_saveexec_b32 s26, s27
	s_xor_b32 s26, exec_lo, s26
	s_cbranch_execz .LBB4_113
; %bb.112:                              ;   in Loop: Header=BB4_83 Depth=2
	ds_write_b32 v0, v45
	s_trap 2
.LBB4_113:                              ;   in Loop: Header=BB4_83 Depth=2
	s_or_b32 exec_lo, exec_lo, s25
	;;#ASMSTART
	s_wakeup
	;;#ASMEND
.LBB4_114:                              ;   in Loop: Header=BB4_83 Depth=2
	s_or_b32 exec_lo, exec_lo, s24
.LBB4_115:                              ;   in Loop: Header=BB4_83 Depth=2
	s_andn2_saveexec_b32 s23, s23
	s_cbranch_execz .LBB4_117
; %bb.116:                              ;   in Loop: Header=BB4_83 Depth=2
	s_waitcnt vmcnt(0) lgkmcnt(0)
	s_waitcnt_vscnt null, 0x0
	buffer_gl1_inv
	buffer_gl0_inv
	s_barrier
.LBB4_117:                              ;   in Loop: Header=BB4_83 Depth=2
	s_or_b32 exec_lo, exec_lo, s23
.LBB4_118:                              ;   in Loop: Header=BB4_83 Depth=2
	s_or_b32 exec_lo, exec_lo, s12
	v_add_nc_u32_e32 v19, 1, v98
	v_mov_b32_e32 v100, v4
	s_and_saveexec_b32 s23, s11
	s_cbranch_execnz .LBB4_125
; %bb.119:                              ;   in Loop: Header=BB4_83 Depth=2
	s_or_b32 exec_lo, exec_lo, s23
	s_and_saveexec_b32 s12, s7
	s_cbranch_execnz .LBB4_142
.LBB4_120:                              ;   in Loop: Header=BB4_83 Depth=2
	s_or_b32 exec_lo, exec_lo, s12
	s_and_saveexec_b32 s12, s9
	s_cbranch_execz .LBB4_122
.LBB4_121:                              ;   in Loop: Header=BB4_83 Depth=2
	v_add_co_u32 v48, vcc_lo, v48, 1
	v_add_co_ci_u32_e64 v49, null, 0, v49, vcc_lo
	s_waitcnt vmcnt(0) lgkmcnt(0)
	s_waitcnt_vscnt null, 0x0
	flat_store_dwordx2 v[50:51], v[48:49]
.LBB4_122:                              ;   in Loop: Header=BB4_83 Depth=2
	s_or_b32 exec_lo, exec_lo, s12
	s_waitcnt vmcnt(0) lgkmcnt(0)
	v_and_b32_e32 v20, 0x7ffffff8, v98
	v_mov_b32_e32 v21, v17
	v_cmp_gt_i32_e64 s12, s18, v100
	v_cmp_eq_u64_e32 vcc_lo, 0x7ffffff8, v[20:21]
	s_and_b32 s12, vcc_lo, s12
	s_and_saveexec_b32 s23, s12
	s_cbranch_execz .LBB4_82
; %bb.123:                              ;   in Loop: Header=BB4_83 Depth=2
	v_and_b32_e32 v18, 7, v59
	v_ashrrev_i32_e32 v101, 31, v100
	s_mov_b32 s24, 0
	v_mul_lo_u32 v20, s18, v18
	v_lshlrev_b64 v[22:23], 4, v[100:101]
	v_mov_b32_e32 v18, v19
	v_ashrrev_i32_e32 v21, 31, v20
	v_lshlrev_b64 v[20:21], 4, v[20:21]
	v_add_co_u32 v20, vcc_lo, v22, v20
	v_add_co_ci_u32_e64 v22, null, v23, v21, vcc_lo
	v_add_co_u32 v21, vcc_lo, v38, v20
	v_add_co_ci_u32_e64 v22, null, v39, v22, vcc_lo
.LBB4_124:                              ;   Parent Loop BB4_36 Depth=1
                                        ;     Parent Loop BB4_83 Depth=2
                                        ; =>    This Inner Loop Header: Depth=3
	v_mov_b32_e32 v19, v17
	v_add_nc_u32_e32 v100, v100, v1
	v_mov_b32_e32 v20, v18
	v_cmp_le_i32_e32 vcc_lo, s18, v100
	global_store_dwordx4 v[21:22], v[17:20], off
	v_add_co_u32 v21, s12, v21, v85
	v_add_co_ci_u32_e64 v22, null, v22, v86, s12
	s_or_b32 s24, vcc_lo, s24
	s_andn2_b32 exec_lo, exec_lo, s24
	s_cbranch_execnz .LBB4_124
	s_branch .LBB4_82
.LBB4_125:                              ;   in Loop: Header=BB4_83 Depth=2
	s_waitcnt vmcnt(0) lgkmcnt(0)
	v_ashrrev_i32_e32 v18, 31, v20
	v_and_b32_e32 v22, 7, v36
	v_and_b32_e32 v100, 7, v98
	v_mul_lo_u32 v23, v67, v20
	v_mad_u64_u32 v[20:21], null, v66, v20, 0
	v_mul_lo_u32 v18, v66, v18
	v_mul_lo_u32 v22, v22, s18
	;; [unrolled: 1-line block ×3, first 2 shown]
	v_add_nc_u32_e32 v60, 1, v36
	v_mov_b32_e32 v73, v56
	s_mov_b32 s24, 0
                                        ; implicit-def: $vgpr74
	v_add3_u32 v21, v21, v18, v23
	v_ashrrev_i32_e32 v23, 31, v22
	v_ashrrev_i32_e32 v101, 31, v100
	v_lshlrev_b64 v[20:21], 2, v[20:21]
	v_lshlrev_b64 v[22:23], 4, v[22:23]
	;; [unrolled: 1-line block ×3, first 2 shown]
	v_add_co_u32 v102, vcc_lo, v57, v20
	v_add_co_ci_u32_e64 v103, null, v58, v21, vcc_lo
	v_add_co_u32 v61, vcc_lo, v34, v22
	v_add_co_ci_u32_e64 v62, null, v35, v23, vcc_lo
	;; [unrolled: 2-line block ×3, first 2 shown]
	v_mov_b32_e32 v100, v4
	s_branch .LBB4_129
.LBB4_126:                              ;   in Loop: Header=BB4_129 Depth=3
	s_or_b32 exec_lo, exec_lo, s12
.LBB4_127:                              ;   in Loop: Header=BB4_129 Depth=3
	s_or_b32 exec_lo, exec_lo, s26
.LBB4_128:                              ;   in Loop: Header=BB4_129 Depth=3
	s_or_b32 exec_lo, exec_lo, s25
	v_lshlrev_b64 v[114:115], 2, v[83:84]
	s_waitcnt vmcnt(0)
	v_xor_b32_e32 v21, v20, v28
	v_xor_b32_e32 v23, v18, v28
	;; [unrolled: 1-line block ×4, first 2 shown]
	v_sub_nc_u32_e32 v73, v73, v83
	v_add_co_u32 v102, vcc_lo, v102, v114
	v_add_co_ci_u32_e64 v103, null, v103, v115, vcc_lo
	v_cmp_gt_u32_e32 vcc_lo, v23, v21
	v_mov_b32_e32 v21, v19
	v_add_nc_u32_e32 v100, v100, v1
	v_cndmask_b32_e32 v18, v18, v20, vcc_lo
	v_cmp_lt_u32_e32 vcc_lo, v101, v75
	v_cndmask_b32_e32 v20, v74, v22, vcc_lo
	v_cmp_gt_i32_e32 vcc_lo, 1, v73
	v_add_co_u32 v22, s12, v63, v112
	v_add_co_ci_u32_e64 v23, null, v72, v113, s12
	s_or_b32 s24, vcc_lo, s24
	global_store_dwordx4 v[22:23], v[18:21], off
	s_andn2_b32 exec_lo, exec_lo, s24
	s_cbranch_execz .LBB4_141
.LBB4_129:                              ;   Parent Loop BB4_36 Depth=1
                                        ;     Parent Loop BB4_83 Depth=2
                                        ; =>    This Loop Header: Depth=3
                                        ;         Child Loop BB4_135 Depth 4
	global_load_dword v18, v[102:103], off slc
	s_mov_b32 s12, exec_lo
	v_cmpx_ne_u32_e32 1, v73
	s_cbranch_execz .LBB4_131
; %bb.130:                              ;   in Loop: Header=BB4_129 Depth=3
	global_load_dword v74, v[102:103], off offset:4 slc
.LBB4_131:                              ;   in Loop: Header=BB4_129 Depth=3
	s_or_b32 exec_lo, exec_lo, s12
	v_mov_b32_e32 v101, v17
	v_lshlrev_b64 v[112:113], 4, v[100:101]
	v_add_co_u32 v114, vcc_lo, v61, v112
	v_add_co_ci_u32_e64 v115, null, v62, v113, vcc_lo
	v_cmp_eq_u32_e32 vcc_lo, 0, v46
	v_mov_b32_e32 v46, 1
	global_load_dwordx4 v[20:23], v[114:115], off slc
	s_and_saveexec_b32 s25, vcc_lo
	s_cbranch_execz .LBB4_128
; %bb.132:                              ;   in Loop: Header=BB4_129 Depth=3
	s_waitcnt vmcnt(0)
	v_cmp_ne_u32_e32 vcc_lo, v60, v21
	v_cmp_ne_u32_e64 s12, v60, v23
	v_mov_b32_e32 v46, 0
	s_or_b32 s12, vcc_lo, s12
	s_and_saveexec_b32 s26, s12
	s_cbranch_execz .LBB4_127
; %bb.133:                              ;   in Loop: Header=BB4_129 Depth=3
	s_mov_b32 s40, 1
	s_mov_b32 s28, 0
                                        ; implicit-def: $sgpr27
                                        ; implicit-def: $sgpr29
	s_inst_prefetch 0x1
	s_branch .LBB4_135
	.p2align	6
.LBB4_134:                              ;   in Loop: Header=BB4_135 Depth=4
	s_or_b32 exec_lo, exec_lo, s42
	s_and_b32 s12, exec_lo, s12
	s_or_b32 s28, s12, s28
	s_andn2_b32 s12, s27, exec_lo
	s_and_b32 s27, s29, exec_lo
	s_or_b32 s27, s12, s27
	s_andn2_b32 exec_lo, exec_lo, s28
	s_cbranch_execz .LBB4_139
.LBB4_135:                              ;   Parent Loop BB4_36 Depth=1
                                        ;     Parent Loop BB4_83 Depth=2
                                        ;       Parent Loop BB4_129 Depth=3
                                        ; =>      This Inner Loop Header: Depth=4
	global_load_dwordx4 v[20:23], v[114:115], off slc
	s_add_i32 s40, s40, 1
	s_mov_b32 s12, -1
	s_cmpk_lg_i32 s40, 0x2710
	s_mov_b32 s41, -1
                                        ; implicit-def: $vgpr101
	s_cbranch_scc0 .LBB4_137
; %bb.136:                              ;   in Loop: Header=BB4_135 Depth=4
	s_or_b32 s29, s29, exec_lo
	s_and_saveexec_b32 s42, s41
	s_cbranch_execz .LBB4_134
	s_branch .LBB4_138
	.p2align	6
.LBB4_137:                              ;   in Loop: Header=BB4_135 Depth=4
	s_trap 2
	ds_read_b64 v[75:76], v0
	s_mov_b32 s40, 0
	s_waitcnt vmcnt(0) lgkmcnt(0)
	s_waitcnt_vscnt null, 0x0
	flat_load_dword v101, v[75:76] glc dlc
	s_waitcnt vmcnt(0) lgkmcnt(0)
	buffer_gl1_inv
	buffer_gl0_inv
	v_cmp_eq_u32_e32 vcc_lo, 0, v101
	s_orn2_b32 s41, vcc_lo, exec_lo
	s_or_b32 s29, s29, exec_lo
	s_and_saveexec_b32 s42, s41
	s_cbranch_execz .LBB4_134
.LBB4_138:                              ;   in Loop: Header=BB4_135 Depth=4
	s_waitcnt vmcnt(0)
	v_cmp_eq_u32_e32 vcc_lo, v60, v21
	v_cmp_eq_u32_e64 s12, v60, v23
	s_andn2_b32 s29, s29, exec_lo
	s_and_b32 s12, vcc_lo, s12
	s_orn2_b32 s12, s12, exec_lo
	s_branch .LBB4_134
.LBB4_139:                              ;   in Loop: Header=BB4_129 Depth=3
	s_inst_prefetch 0x2
	s_or_b32 exec_lo, exec_lo, s28
	v_mov_b32_e32 v46, 0
	s_and_saveexec_b32 s12, s27
	s_xor_b32 s12, exec_lo, s12
	s_cbranch_execz .LBB4_126
; %bb.140:                              ;   in Loop: Header=BB4_129 Depth=3
	v_mov_b32_e32 v46, 1
	s_waitcnt vmcnt(0)
	s_waitcnt_vscnt null, 0x0
	ds_write_b32 v0, v101
	s_trap 2
	s_branch .LBB4_126
.LBB4_141:                              ;   in Loop: Header=BB4_83 Depth=2
	s_or_b32 exec_lo, exec_lo, s24
	s_or_b32 exec_lo, exec_lo, s23
	s_and_saveexec_b32 s12, s7
	s_cbranch_execz .LBB4_120
.LBB4_142:                              ;   in Loop: Header=BB4_83 Depth=2
	s_and_saveexec_b32 s23, s19
	s_xor_b32 s23, exec_lo, s23
	s_cbranch_execz .LBB4_157
; %bb.143:                              ;   in Loop: Header=BB4_83 Depth=2
	s_and_saveexec_b32 s24, s8
	s_cbranch_execz .LBB4_156
; %bb.144:                              ;   in Loop: Header=BB4_83 Depth=2
	s_mov_b32 s26, exec_lo
	s_mov_b32 s25, exec_lo
	v_mbcnt_lo_u32_b32 v18, s26, 0
	s_waitcnt vmcnt(0) lgkmcnt(0)
	s_waitcnt_vscnt null, 0x0
	buffer_gl1_inv
	buffer_gl0_inv
	v_cmpx_eq_u32_e32 0, v18
	s_cbranch_execz .LBB4_146
; %bb.145:                              ;   in Loop: Header=BB4_83 Depth=2
	s_bcnt1_i32_b32 s26, s26
	v_mov_b32_e32 v21, v17
	v_mov_b32_e32 v20, s26
	ds_add_u64 v0, v[20:21]
	s_trap 2
.LBB4_146:                              ;   in Loop: Header=BB4_83 Depth=2
	s_or_b32 exec_lo, exec_lo, s25
	s_trap 2
	ds_read_b64 v[20:21], v0
	s_waitcnt lgkmcnt(0)
	buffer_gl0_inv
	v_add_co_u32 v2, vcc_lo, v2, v87
	v_add_co_ci_u32_e64 v3, null, 0, v3, vcc_lo
	s_mov_b32 s25, exec_lo
	v_cmpx_lt_u64_e64 v[20:21], v[2:3]
	s_cbranch_execz .LBB4_155
; %bb.147:                              ;   in Loop: Header=BB4_83 Depth=2
	s_mov_b32 s26, 0
	s_mov_b32 s29, 0
                                        ; implicit-def: $sgpr27
                                        ; implicit-def: $sgpr28
	s_inst_prefetch 0x1
	s_branch .LBB4_149
	.p2align	6
.LBB4_148:                              ;   in Loop: Header=BB4_149 Depth=3
	s_or_b32 exec_lo, exec_lo, s41
	s_and_b32 s40, exec_lo, s42
	s_or_b32 s26, s40, s26
	s_andn2_b32 s27, s27, exec_lo
	s_and_b32 s40, s28, exec_lo
	s_or_b32 s27, s27, s40
	s_andn2_b32 exec_lo, exec_lo, s26
	s_cbranch_execz .LBB4_153
.LBB4_149:                              ;   Parent Loop BB4_36 Depth=1
                                        ;     Parent Loop BB4_83 Depth=2
                                        ; =>    This Inner Loop Header: Depth=3
	s_add_i32 s29, s29, 1
	s_cmpk_lg_i32 s29, 0x2710
	s_cselect_b32 s40, -1, 0
	s_and_b32 vcc_lo, exec_lo, s40
	s_cbranch_vccz .LBB4_151
; %bb.150:                              ;   in Loop: Header=BB4_149 Depth=3
	s_mov_b32 s42, -1
	s_or_b32 s28, s28, exec_lo
	s_and_saveexec_b32 s41, s40
	s_cbranch_execz .LBB4_148
	s_branch .LBB4_152
	.p2align	6
.LBB4_151:                              ;   in Loop: Header=BB4_149 Depth=3
	s_trap 2
	ds_read_b64 v[20:21], v0
	s_andn2_b32 s40, s40, exec_lo
	s_mov_b32 s29, 0
	s_waitcnt lgkmcnt(0)
	flat_load_dword v18, v[20:21] glc dlc
	s_waitcnt vmcnt(0) lgkmcnt(0)
	buffer_gl1_inv
	buffer_gl0_inv
	v_cmp_eq_u32_e32 vcc_lo, 0, v18
	s_and_b32 s41, vcc_lo, exec_lo
	s_or_b32 s40, s40, s41
	s_mov_b32 s42, -1
	s_or_b32 s28, s28, exec_lo
	s_and_saveexec_b32 s41, s40
	s_cbranch_execz .LBB4_148
.LBB4_152:                              ;   in Loop: Header=BB4_149 Depth=3
	s_sleep 1
	s_trap 2
	ds_read_b64 v[20:21], v0
	s_waitcnt lgkmcnt(0)
	buffer_gl0_inv
	s_andn2_b32 s28, s28, exec_lo
	v_cmp_ge_u64_e32 vcc_lo, v[20:21], v[2:3]
	s_orn2_b32 s42, vcc_lo, exec_lo
	s_branch .LBB4_148
.LBB4_153:                              ;   in Loop: Header=BB4_83 Depth=2
	s_inst_prefetch 0x2
	s_or_b32 exec_lo, exec_lo, s26
	s_and_saveexec_b32 s26, s27
	s_xor_b32 s26, exec_lo, s26
	s_cbranch_execz .LBB4_155
; %bb.154:                              ;   in Loop: Header=BB4_83 Depth=2
	ds_write_b32 v0, v45
	s_trap 2
.LBB4_155:                              ;   in Loop: Header=BB4_83 Depth=2
	s_or_b32 exec_lo, exec_lo, s25
	;;#ASMSTART
	s_wakeup
	;;#ASMEND
.LBB4_156:                              ;   in Loop: Header=BB4_83 Depth=2
	s_or_b32 exec_lo, exec_lo, s24
.LBB4_157:                              ;   in Loop: Header=BB4_83 Depth=2
	s_andn2_saveexec_b32 s23, s23
	s_cbranch_execz .LBB4_159
; %bb.158:                              ;   in Loop: Header=BB4_83 Depth=2
	s_waitcnt vmcnt(0) lgkmcnt(0)
	s_waitcnt_vscnt null, 0x0
	buffer_gl1_inv
	buffer_gl0_inv
	s_barrier
.LBB4_159:                              ;   in Loop: Header=BB4_83 Depth=2
	s_or_b32 exec_lo, exec_lo, s23
	s_or_b32 exec_lo, exec_lo, s12
	s_and_saveexec_b32 s12, s9
	s_cbranch_execnz .LBB4_121
	s_branch .LBB4_122
.LBB4_160:                              ;   in Loop: Header=BB4_36 Depth=1
	v_mov_b32_e32 v22, v98
	v_mov_b32_e32 v23, v99
	s_and_saveexec_b32 s22, s11
	s_cbranch_execnz .LBB4_163
; %bb.161:                              ;   in Loop: Header=BB4_36 Depth=1
	s_or_b32 exec_lo, exec_lo, s22
	s_and_saveexec_b32 s11, s7
	s_cbranch_execnz .LBB4_186
.LBB4_162:                              ;   in Loop: Header=BB4_36 Depth=1
	s_or_b32 exec_lo, exec_lo, s11
	s_and_saveexec_b32 s11, s9
	s_cbranch_execz .LBB4_35
	s_branch .LBB4_204
.LBB4_163:                              ;   in Loop: Header=BB4_36 Depth=1
	flat_load_dword v18, v[24:25]
	v_and_b32_e32 v21, 7, v36
	v_add_nc_u32_e32 v103, 1, v36
	v_mov_b32_e32 v100, v4
	s_mov_b32 s23, 0
                                        ; implicit-def: $vgpr114
	s_waitcnt vmcnt(0) lgkmcnt(0)
	v_ashrrev_i32_e32 v20, 31, v18
	v_mul_lo_u32 v98, v67, v18
	v_mad_u64_u32 v[18:19], null, v66, v18, 0
	v_mul_lo_u32 v99, v66, v20
	v_mul_lo_u32 v20, v21, s18
	v_add3_u32 v19, v19, v99, v98
	v_ashrrev_i32_e32 v21, 31, v20
	v_add_co_u32 v98, vcc_lo, v11, v96
	v_add_co_ci_u32_e64 v99, null, v12, v97, vcc_lo
	v_lshlrev_b64 v[18:19], 2, v[18:19]
	v_lshlrev_b64 v[20:21], 4, v[20:21]
	v_add_co_u32 v96, vcc_lo, v118, v96
	v_add_co_ci_u32_e64 v97, null, v119, v97, vcc_lo
	v_add_co_u32 v18, vcc_lo, v98, v18
	v_add_co_ci_u32_e64 v19, null, v99, v19, vcc_lo
	;; [unrolled: 2-line block ×4, first 2 shown]
	s_branch .LBB4_165
.LBB4_164:                              ;   in Loop: Header=BB4_165 Depth=2
	v_lshlrev_b64 v[18:19], 2, v[83:84]
	v_sub_nc_u32_e32 v56, v56, v83
	v_add_nc_u32_e32 v100, v100, v1
	v_cmp_gt_i32_e32 vcc_lo, 1, v56
	v_add_co_u32 v98, s11, v98, v18
	v_add_co_ci_u32_e64 v99, null, v99, v19, s11
	v_add_co_u32 v96, s11, v96, v18
	v_add_co_ci_u32_e64 v97, null, v97, v19, s11
	s_or_b32 s23, vcc_lo, s23
	s_andn2_b32 exec_lo, exec_lo, s23
	s_cbranch_execz .LBB4_185
.LBB4_165:                              ;   Parent Loop BB4_36 Depth=1
                                        ; =>  This Loop Header: Depth=2
                                        ;       Child Loop BB4_171 Depth 3
	global_load_dword v115, v[98:99], off slc
	v_cmp_ne_u32_e32 vcc_lo, 1, v56
	s_and_saveexec_b32 s11, vcc_lo
	s_cbranch_execz .LBB4_167
; %bb.166:                              ;   in Loop: Header=BB4_165 Depth=2
	global_load_dword v114, v[98:99], off offset:4 slc
.LBB4_167:                              ;   in Loop: Header=BB4_165 Depth=2
	s_or_b32 exec_lo, exec_lo, s11
	v_mov_b32_e32 v101, v17
	v_lshlrev_b64 v[18:19], 4, v[100:101]
	v_add_co_u32 v101, s11, v112, v18
	v_add_co_ci_u32_e64 v102, null, v113, v19, s11
	v_cmp_eq_u32_e64 s11, 0, v46
	v_mov_b32_e32 v46, 1
	global_load_dwordx4 v[18:21], v[101:102], off slc
	s_and_saveexec_b32 s24, s11
	s_cbranch_execz .LBB4_179
; %bb.168:                              ;   in Loop: Header=BB4_165 Depth=2
	s_waitcnt vmcnt(0)
	v_cmp_ne_u32_e64 s11, v103, v19
	v_cmp_ne_u32_e64 s12, v103, v21
	v_mov_b32_e32 v46, 0
	s_or_b32 s11, s11, s12
	s_and_saveexec_b32 s25, s11
	s_cbranch_execz .LBB4_178
; %bb.169:                              ;   in Loop: Header=BB4_165 Depth=2
	s_mov_b32 s29, 1
	s_mov_b32 s27, 0
                                        ; implicit-def: $sgpr26
                                        ; implicit-def: $sgpr28
	s_inst_prefetch 0x1
	s_branch .LBB4_171
	.p2align	6
.LBB4_170:                              ;   in Loop: Header=BB4_171 Depth=3
	s_or_b32 exec_lo, exec_lo, s40
	s_and_b32 s11, exec_lo, s12
	s_or_b32 s27, s11, s27
	s_andn2_b32 s11, s26, exec_lo
	s_and_b32 s12, s28, exec_lo
	s_or_b32 s26, s11, s12
	s_andn2_b32 exec_lo, exec_lo, s27
	s_cbranch_execz .LBB4_175
.LBB4_171:                              ;   Parent Loop BB4_36 Depth=1
                                        ;     Parent Loop BB4_165 Depth=2
                                        ; =>    This Inner Loop Header: Depth=3
	global_load_dwordx4 v[18:21], v[101:102], off slc
	s_add_i32 s29, s29, 1
	s_mov_b32 s12, -1
	s_cmpk_lg_i32 s29, 0x2710
	s_mov_b32 s11, -1
                                        ; implicit-def: $vgpr47
	s_cbranch_scc0 .LBB4_173
; %bb.172:                              ;   in Loop: Header=BB4_171 Depth=3
	s_or_b32 s28, s28, exec_lo
	s_and_saveexec_b32 s40, s11
	s_cbranch_execz .LBB4_170
	s_branch .LBB4_174
	.p2align	6
.LBB4_173:                              ;   in Loop: Header=BB4_171 Depth=3
	s_trap 2
	ds_read_b64 v[46:47], v0
	s_mov_b32 s29, 0
	s_waitcnt vmcnt(0) lgkmcnt(0)
	s_waitcnt_vscnt null, 0x0
	flat_load_dword v47, v[46:47] glc dlc
	s_waitcnt vmcnt(0) lgkmcnt(0)
	buffer_gl1_inv
	buffer_gl0_inv
	v_cmp_eq_u32_e64 s11, 0, v47
	s_orn2_b32 s11, s11, exec_lo
	s_or_b32 s28, s28, exec_lo
	s_and_saveexec_b32 s40, s11
	s_cbranch_execz .LBB4_170
.LBB4_174:                              ;   in Loop: Header=BB4_171 Depth=3
	s_waitcnt vmcnt(0)
	v_cmp_eq_u32_e64 s11, v103, v19
	v_cmp_eq_u32_e64 s12, v103, v21
	s_andn2_b32 s28, s28, exec_lo
	s_and_b32 s11, s11, s12
	s_orn2_b32 s12, s11, exec_lo
	s_branch .LBB4_170
.LBB4_175:                              ;   in Loop: Header=BB4_165 Depth=2
	s_inst_prefetch 0x2
	s_or_b32 exec_lo, exec_lo, s27
	v_mov_b32_e32 v46, 0
	s_and_saveexec_b32 s11, s26
	s_xor_b32 s11, exec_lo, s11
	s_cbranch_execz .LBB4_177
; %bb.176:                              ;   in Loop: Header=BB4_165 Depth=2
	v_mov_b32_e32 v46, 1
	s_waitcnt vmcnt(0)
	s_waitcnt_vscnt null, 0x0
	ds_write_b32 v0, v47
	s_trap 2
.LBB4_177:                              ;   in Loop: Header=BB4_165 Depth=2
	s_or_b32 exec_lo, exec_lo, s11
.LBB4_178:                              ;   in Loop: Header=BB4_165 Depth=2
	s_or_b32 exec_lo, exec_lo, s25
.LBB4_179:                              ;   in Loop: Header=BB4_165 Depth=2
	s_or_b32 exec_lo, exec_lo, s24
	s_waitcnt vmcnt(0)
	v_xor_b32_e32 v19, v18, v28
	v_xor_b32_e32 v101, v115, v28
	v_cmp_ne_u32_e64 s11, 1, v56
	v_xor_b32_e32 v102, v20, v28
	v_xor_b32_e32 v47, v114, v28
	v_cmp_gt_u32_e64 s12, v101, v19
	s_and_b32 s11, s10, s11
	v_cndmask_b32_e64 v21, 0, 1, s11
	v_cndmask_b32_e64 v18, v115, v18, s12
	v_cmp_lt_u32_e64 s12, v102, v47
	v_cmp_ne_u32_e64 s11, 0, v21
	v_cndmask_b32_e64 v19, v114, v20, s12
	s_cmp_lg_u32 s11, exec_lo
	s_mov_b32 s11, -1
	s_cbranch_scc0 .LBB4_183
; %bb.180:                              ;   in Loop: Header=BB4_165 Depth=2
	flat_store_dword v[96:97], v18
	s_and_saveexec_b32 s11, vcc_lo
	s_cbranch_execz .LBB4_182
; %bb.181:                              ;   in Loop: Header=BB4_165 Depth=2
	flat_store_dword v[96:97], v19 offset:4
.LBB4_182:                              ;   in Loop: Header=BB4_165 Depth=2
	s_or_b32 exec_lo, exec_lo, s11
	s_mov_b32 s11, 0
.LBB4_183:                              ;   in Loop: Header=BB4_165 Depth=2
	s_andn2_b32 vcc_lo, exec_lo, s11
	s_cbranch_vccnz .LBB4_164
; %bb.184:                              ;   in Loop: Header=BB4_165 Depth=2
	global_store_dwordx2 v[96:97], v[18:19], off
	s_branch .LBB4_164
.LBB4_185:                              ;   in Loop: Header=BB4_36 Depth=1
	s_or_b32 exec_lo, exec_lo, s23
	s_or_b32 exec_lo, exec_lo, s22
	s_and_saveexec_b32 s11, s7
	s_cbranch_execz .LBB4_162
.LBB4_186:                              ;   in Loop: Header=BB4_36 Depth=1
	s_and_saveexec_b32 s12, s19
	s_xor_b32 s12, exec_lo, s12
	s_cbranch_execz .LBB4_201
; %bb.187:                              ;   in Loop: Header=BB4_36 Depth=1
	s_and_saveexec_b32 s22, s8
	s_cbranch_execz .LBB4_200
; %bb.188:                              ;   in Loop: Header=BB4_36 Depth=1
	s_mov_b32 s24, exec_lo
	s_mov_b32 s23, exec_lo
	v_mbcnt_lo_u32_b32 v18, s24, 0
	s_waitcnt lgkmcnt(0)
	s_waitcnt_vscnt null, 0x0
	buffer_gl1_inv
	buffer_gl0_inv
	v_cmpx_eq_u32_e32 0, v18
	s_cbranch_execz .LBB4_190
; %bb.189:                              ;   in Loop: Header=BB4_36 Depth=1
	s_bcnt1_i32_b32 s24, s24
	v_mov_b32_e32 v19, v17
	v_mov_b32_e32 v18, s24
	ds_add_u64 v0, v[18:19]
	s_trap 2
.LBB4_190:                              ;   in Loop: Header=BB4_36 Depth=1
	s_or_b32 exec_lo, exec_lo, s23
	s_trap 2
	ds_read_b64 v[18:19], v0
	s_waitcnt lgkmcnt(0)
	buffer_gl0_inv
	v_add_co_u32 v2, vcc_lo, v2, v87
	v_add_co_ci_u32_e64 v3, null, 0, v3, vcc_lo
	s_mov_b32 s23, exec_lo
	v_cmpx_lt_u64_e64 v[18:19], v[2:3]
	s_cbranch_execz .LBB4_199
; %bb.191:                              ;   in Loop: Header=BB4_36 Depth=1
	s_mov_b32 s24, 0
	s_mov_b32 s27, 0
                                        ; implicit-def: $sgpr25
                                        ; implicit-def: $sgpr26
	s_inst_prefetch 0x1
	s_branch .LBB4_193
	.p2align	6
.LBB4_192:                              ;   in Loop: Header=BB4_193 Depth=2
	s_or_b32 exec_lo, exec_lo, s29
	s_and_b32 s28, exec_lo, s40
	s_or_b32 s24, s28, s24
	s_andn2_b32 s25, s25, exec_lo
	s_and_b32 s28, s26, exec_lo
	s_or_b32 s25, s25, s28
	s_andn2_b32 exec_lo, exec_lo, s24
	s_cbranch_execz .LBB4_197
.LBB4_193:                              ;   Parent Loop BB4_36 Depth=1
                                        ; =>  This Inner Loop Header: Depth=2
	s_add_i32 s27, s27, 1
	s_cmpk_lg_i32 s27, 0x2710
	s_cselect_b32 s28, -1, 0
	s_and_b32 vcc_lo, exec_lo, s28
	s_cbranch_vccz .LBB4_195
; %bb.194:                              ;   in Loop: Header=BB4_193 Depth=2
	s_mov_b32 s40, -1
	s_or_b32 s26, s26, exec_lo
	s_and_saveexec_b32 s29, s28
	s_cbranch_execz .LBB4_192
	s_branch .LBB4_196
	.p2align	6
.LBB4_195:                              ;   in Loop: Header=BB4_193 Depth=2
	s_trap 2
	ds_read_b64 v[18:19], v0
	s_andn2_b32 s28, s28, exec_lo
	s_mov_b32 s27, 0
	s_waitcnt lgkmcnt(0)
	flat_load_dword v18, v[18:19] glc dlc
	s_waitcnt vmcnt(0) lgkmcnt(0)
	buffer_gl1_inv
	buffer_gl0_inv
	v_cmp_eq_u32_e32 vcc_lo, 0, v18
	s_and_b32 s29, vcc_lo, exec_lo
	s_or_b32 s28, s28, s29
	s_mov_b32 s40, -1
	s_or_b32 s26, s26, exec_lo
	s_and_saveexec_b32 s29, s28
	s_cbranch_execz .LBB4_192
.LBB4_196:                              ;   in Loop: Header=BB4_193 Depth=2
	s_sleep 1
	s_trap 2
	ds_read_b64 v[18:19], v0
	s_waitcnt lgkmcnt(0)
	buffer_gl0_inv
	s_andn2_b32 s26, s26, exec_lo
	v_cmp_ge_u64_e32 vcc_lo, v[18:19], v[2:3]
	s_orn2_b32 s40, vcc_lo, exec_lo
	s_branch .LBB4_192
.LBB4_197:                              ;   in Loop: Header=BB4_36 Depth=1
	s_inst_prefetch 0x2
	s_or_b32 exec_lo, exec_lo, s24
	s_and_saveexec_b32 s24, s25
	s_xor_b32 s24, exec_lo, s24
	s_cbranch_execz .LBB4_199
; %bb.198:                              ;   in Loop: Header=BB4_36 Depth=1
	ds_write_b32 v0, v45
	s_trap 2
.LBB4_199:                              ;   in Loop: Header=BB4_36 Depth=1
	s_or_b32 exec_lo, exec_lo, s23
	;;#ASMSTART
	s_wakeup
	;;#ASMEND
.LBB4_200:                              ;   in Loop: Header=BB4_36 Depth=1
	s_or_b32 exec_lo, exec_lo, s22
.LBB4_201:                              ;   in Loop: Header=BB4_36 Depth=1
	s_andn2_saveexec_b32 s12, s12
	s_cbranch_execz .LBB4_203
; %bb.202:                              ;   in Loop: Header=BB4_36 Depth=1
	s_waitcnt lgkmcnt(0)
	s_waitcnt_vscnt null, 0x0
	buffer_gl1_inv
	buffer_gl0_inv
	s_barrier
.LBB4_203:                              ;   in Loop: Header=BB4_36 Depth=1
	s_or_b32 exec_lo, exec_lo, s12
	s_or_b32 exec_lo, exec_lo, s11
	s_and_saveexec_b32 s11, s9
	s_cbranch_execz .LBB4_35
.LBB4_204:                              ;   in Loop: Header=BB4_36 Depth=1
	v_add_co_u32 v48, vcc_lo, v48, 1
	v_add_co_ci_u32_e64 v49, null, 0, v49, vcc_lo
	s_waitcnt lgkmcnt(0)
	s_waitcnt_vscnt null, 0x0
	flat_store_dwordx2 v[50:51], v[48:49]
	s_branch .LBB4_35
.LBB4_205:
	s_or_b32 exec_lo, exec_lo, s20
	s_or_b32 exec_lo, exec_lo, s17
	s_and_saveexec_b32 s5, s16
	s_cbranch_execz .LBB4_20
.LBB4_206:
	s_waitcnt vmcnt(0) lgkmcnt(0)
	flat_store_dwordx2 v[32:33], v[48:49] offset:104
	s_or_b32 exec_lo, exec_lo, s5
	s_and_saveexec_b32 s5, s4
	s_cbranch_execnz .LBB4_21
	s_branch .LBB4_22
.LBB4_207:
	s_inst_prefetch 0x2
	s_or_b32 exec_lo, exec_lo, s8
	s_and_saveexec_b32 s8, s9
	s_xor_b32 s8, exec_lo, s8
	s_cbranch_execz .LBB4_209
; %bb.208:
	v_mov_b32_e32 v0, 1
	ds_write_b32 v0, v0
	s_trap 2
.LBB4_209:
	s_or_b32 exec_lo, exec_lo, s7
	;;#ASMSTART
	s_wakeup
	;;#ASMEND
.LBB4_210:
	s_or_b32 exec_lo, exec_lo, s6
.LBB4_211:
	s_andn2_saveexec_b32 s5, s5
	s_cbranch_execz .LBB4_213
; %bb.212:
	s_waitcnt vmcnt(0) lgkmcnt(0)
	s_waitcnt_vscnt null, 0x0
	buffer_gl1_inv
	buffer_gl0_inv
	s_barrier
.LBB4_213:
	s_or_b32 exec_lo, exec_lo, s4
	s_clause 0x14
	buffer_load_dword v76, off, s[0:3], s32
	buffer_load_dword v75, off, s[0:3], s32 offset:4
	buffer_load_dword v74, off, s[0:3], s32 offset:8
	;; [unrolled: 1-line block ×20, first 2 shown]
	s_waitcnt vmcnt(0) lgkmcnt(0)
	s_setpc_b64 s[30:31]
.Lfunc_end4:
	.size	_ZN12_GLOBAL__N_17runRingIj10FuncMinMaxIjE7ProtoLLLi0ELi4ELi0EEEviiP15ncclDevWorkColl, .Lfunc_end4-_ZN12_GLOBAL__N_17runRingIj10FuncMinMaxIjE7ProtoLLLi0ELi4ELi0EEEviiP15ncclDevWorkColl
                                        ; -- End function
	.set .L_ZN12_GLOBAL__N_17runRingIj10FuncMinMaxIjE7ProtoLLLi0ELi4ELi0EEEviiP15ncclDevWorkColl.num_vgpr, 120
	.set .L_ZN12_GLOBAL__N_17runRingIj10FuncMinMaxIjE7ProtoLLLi0ELi4ELi0EEEviiP15ncclDevWorkColl.num_agpr, 0
	.set .L_ZN12_GLOBAL__N_17runRingIj10FuncMinMaxIjE7ProtoLLLi0ELi4ELi0EEEviiP15ncclDevWorkColl.numbered_sgpr, 45
	.set .L_ZN12_GLOBAL__N_17runRingIj10FuncMinMaxIjE7ProtoLLLi0ELi4ELi0EEEviiP15ncclDevWorkColl.num_named_barrier, 0
	.set .L_ZN12_GLOBAL__N_17runRingIj10FuncMinMaxIjE7ProtoLLLi0ELi4ELi0EEEviiP15ncclDevWorkColl.private_seg_size, 88
	.set .L_ZN12_GLOBAL__N_17runRingIj10FuncMinMaxIjE7ProtoLLLi0ELi4ELi0EEEviiP15ncclDevWorkColl.uses_vcc, 1
	.set .L_ZN12_GLOBAL__N_17runRingIj10FuncMinMaxIjE7ProtoLLLi0ELi4ELi0EEEviiP15ncclDevWorkColl.uses_flat_scratch, 1
	.set .L_ZN12_GLOBAL__N_17runRingIj10FuncMinMaxIjE7ProtoLLLi0ELi4ELi0EEEviiP15ncclDevWorkColl.has_dyn_sized_stack, 0
	.set .L_ZN12_GLOBAL__N_17runRingIj10FuncMinMaxIjE7ProtoLLLi0ELi4ELi0EEEviiP15ncclDevWorkColl.has_recursion, 0
	.set .L_ZN12_GLOBAL__N_17runRingIj10FuncMinMaxIjE7ProtoLLLi0ELi4ELi0EEEviiP15ncclDevWorkColl.has_indirect_call, 0
	.section	.AMDGPU.csdata,"",@progbits
; Function info:
; codeLenInByte = 8280
; TotalNumSgprs: 47
; NumVgprs: 120
; ScratchSize: 88
; MemoryBound: 0
	.text
	.p2align	2                               ; -- Begin function _Z50ncclDevFunc_ReduceScatter_RING_LL_MinMax_u32_0_0_4v
	.type	_Z50ncclDevFunc_ReduceScatter_RING_LL_MinMax_u32_0_0_4v,@function
_Z50ncclDevFunc_ReduceScatter_RING_LL_MinMax_u32_0_0_4v: ; @_Z50ncclDevFunc_ReduceScatter_RING_LL_MinMax_u32_0_0_4v
; %bb.0:
	s_waitcnt vmcnt(0) expcnt(0) lgkmcnt(0)
	s_mov_b32 s58, s33
	s_mov_b32 s33, s32
	s_or_saveexec_b32 s4, -1
	buffer_store_dword v42, off, s[0:3], s33 offset:8 ; 4-byte Folded Spill
	s_mov_b32 exec_lo, s4
	s_addk_i32 s32, 0x200
	buffer_store_dword v40, off, s[0:3], s33 offset:4 ; 4-byte Folded Spill
	buffer_store_dword v41, off, s[0:3], s33 ; 4-byte Folded Spill
	v_writelane_b32 v42, s30, 0
	v_writelane_b32 v42, s31, 1
	s_trap 2
	ds_read_b32 v2, v0
	v_and_b32_e32 v40, 0x3ff, v31
	s_mov_b32 s45, s12
	s_mov_b64 s[46:47], s[8:9]
	s_mov_b32 s4, exec_lo
	s_waitcnt lgkmcnt(0)
	v_cmpx_lt_i32_e64 v40, v2
	s_cbranch_execz .LBB5_5
; %bb.1:
	s_load_dword s5, s[46:47], 0x0
	v_mov_b32_e32 v1, 0
	v_mov_b32_e32 v5, v40
                                        ; implicit-def: $vgpr6
	s_waitcnt lgkmcnt(0)
	s_cmp_lt_u32 s45, s5
	s_cselect_b32 s5, 12, 18
	s_add_u32 s6, s46, s5
	s_addc_u32 s7, s47, 0
	s_mov_b32 s5, 0
	global_load_ushort v3, v1, s[6:7]
	s_trap 2
	ds_read_b32 v0, v0
	s_waitcnt vmcnt(0) lgkmcnt(0)
	v_mul_lo_u32 v4, v0, v3
	s_branch .LBB5_3
	.p2align	6
.LBB5_2:                                ;   in Loop: Header=BB5_3 Depth=1
	s_or_b32 exec_lo, exec_lo, s6
	v_add_nc_u32_e32 v5, v5, v3
	v_add_nc_u32_e32 v6, v6, v4
	v_cmp_ge_i32_e32 vcc_lo, v5, v2
	s_or_b32 s5, vcc_lo, s5
	s_andn2_b32 exec_lo, exec_lo, s5
	s_cbranch_execz .LBB5_5
.LBB5_3:                                ; =>This Inner Loop Header: Depth=1
	ds_read_b32 v0, v6
	s_mov_b32 s6, exec_lo
	s_waitcnt lgkmcnt(0)
	v_and_b32_e32 v0, 0x1000000, v0
	v_cmpx_ne_u32_e32 0, v0
	s_cbranch_execz .LBB5_2
; %bb.4:                                ;   in Loop: Header=BB5_3 Depth=1
	ds_read_b64 v[7:8], v6 offset:104
	s_waitcnt lgkmcnt(0)
	flat_load_dword v0, v[7:8]
	s_waitcnt vmcnt(0) lgkmcnt(0)
	ds_write_b64 v6, v[0:1] offset:104
	s_branch .LBB5_2
.LBB5_5:
	s_or_b32 exec_lo, exec_lo, s4
	s_waitcnt lgkmcnt(0)
	s_waitcnt_vscnt null, 0x0
	s_barrier
	buffer_gl0_inv
	s_trap 2
	ds_read_b32 v0, v0
	s_waitcnt lgkmcnt(0)
	v_cmp_gt_i32_e32 vcc_lo, 1, v0
	s_cbranch_vccnz .LBB5_13
; %bb.6:
	v_mov_b32_e32 v41, 5
	s_mov_b32 s56, 0
	s_inst_prefetch 0x1
	s_branch .LBB5_8
	.p2align	6
.LBB5_7:                                ;   in Loop: Header=BB5_8 Depth=1
	s_or_b32 exec_lo, exec_lo, s57
	s_trap 2
	ds_read_b32 v0, v0
	s_add_i32 s56, s56, 1
	s_waitcnt lgkmcnt(0)
	v_cmp_lt_i32_e32 vcc_lo, s56, v0
	s_cbranch_vccz .LBB5_13
.LBB5_8:                                ; =>This Inner Loop Header: Depth=1
	s_trap 2
	ds_read_b32 v0, v0
	s_cmp_eq_u32 s56, 0
	s_cbranch_scc1 .LBB5_11
; %bb.9:                                ;   in Loop: Header=BB5_8 Depth=1
	s_trap 2
	s_waitcnt lgkmcnt(0)
	ds_read_b32 v1, v0
	s_waitcnt lgkmcnt(0)
	v_xor_b32_e32 v1, v1, v0
	v_and_b32_e32 v1, 0xff0000, v1
	v_cmp_eq_u32_e32 vcc_lo, 0, v1
	s_cbranch_vccnz .LBB5_11
; %bb.10:                               ;   in Loop: Header=BB5_8 Depth=1
	s_barrier
	buffer_gl0_inv
	ds_read_b32 v0, v0
.LBB5_11:                               ;   in Loop: Header=BB5_8 Depth=1
	s_waitcnt lgkmcnt(0)
	v_lshlrev_b32_sdwa v1, v41, v0 dst_sel:DWORD dst_unused:UNUSED_PAD src0_sel:DWORD src1_sel:BYTE_2
	s_mov_b32 s57, exec_lo
	v_cmpx_lt_u32_e64 v40, v1
	s_cbranch_execz .LBB5_7
; %bb.12:                               ;   in Loop: Header=BB5_8 Depth=1
	s_mov_b64 s[4:5], src_shared_base
	v_mov_b32_e32 v0, v40
	v_mov_b32_e32 v3, s5
	s_getpc_b64 s[6:7]
	s_add_u32 s6, s6, _ZN12_GLOBAL__N_17runRingIj10FuncMinMaxIjE7ProtoLLLi0ELi4ELi0EEEviiP15ncclDevWorkColl@rel32@lo+4
	s_addc_u32 s7, s7, _ZN12_GLOBAL__N_17runRingIj10FuncMinMaxIjE7ProtoLLLi0ELi4ELi0EEEviiP15ncclDevWorkColl@rel32@hi+12
	s_mov_b64 s[8:9], s[46:47]
	s_mov_b32 s12, s45
	s_swappc_b64 s[30:31], s[6:7]
	s_branch .LBB5_7
.LBB5_13:
	s_inst_prefetch 0x2
	s_clause 0x1
	buffer_load_dword v41, off, s[0:3], s33
	buffer_load_dword v40, off, s[0:3], s33 offset:4
	v_readlane_b32 s30, v42, 0
	v_readlane_b32 s31, v42, 1
	s_mov_b32 s32, s33
	s_or_saveexec_b32 s4, -1
	buffer_load_dword v42, off, s[0:3], s33 offset:8 ; 4-byte Folded Reload
	s_mov_b32 exec_lo, s4
	s_mov_b32 s33, s58
	s_waitcnt vmcnt(0)
	s_setpc_b64 s[30:31]
.Lfunc_end5:
	.size	_Z50ncclDevFunc_ReduceScatter_RING_LL_MinMax_u32_0_0_4v, .Lfunc_end5-_Z50ncclDevFunc_ReduceScatter_RING_LL_MinMax_u32_0_0_4v
                                        ; -- End function
	.set .L_Z50ncclDevFunc_ReduceScatter_RING_LL_MinMax_u32_0_0_4v.num_vgpr, max(43, .L_ZN12_GLOBAL__N_17runRingIj10FuncMinMaxIjE7ProtoLLLi0ELi4ELi0EEEviiP15ncclDevWorkColl.num_vgpr)
	.set .L_Z50ncclDevFunc_ReduceScatter_RING_LL_MinMax_u32_0_0_4v.num_agpr, max(0, .L_ZN12_GLOBAL__N_17runRingIj10FuncMinMaxIjE7ProtoLLLi0ELi4ELi0EEEviiP15ncclDevWorkColl.num_agpr)
	.set .L_Z50ncclDevFunc_ReduceScatter_RING_LL_MinMax_u32_0_0_4v.numbered_sgpr, max(59, .L_ZN12_GLOBAL__N_17runRingIj10FuncMinMaxIjE7ProtoLLLi0ELi4ELi0EEEviiP15ncclDevWorkColl.numbered_sgpr)
	.set .L_Z50ncclDevFunc_ReduceScatter_RING_LL_MinMax_u32_0_0_4v.num_named_barrier, max(0, .L_ZN12_GLOBAL__N_17runRingIj10FuncMinMaxIjE7ProtoLLLi0ELi4ELi0EEEviiP15ncclDevWorkColl.num_named_barrier)
	.set .L_Z50ncclDevFunc_ReduceScatter_RING_LL_MinMax_u32_0_0_4v.private_seg_size, 16+max(.L_ZN12_GLOBAL__N_17runRingIj10FuncMinMaxIjE7ProtoLLLi0ELi4ELi0EEEviiP15ncclDevWorkColl.private_seg_size)
	.set .L_Z50ncclDevFunc_ReduceScatter_RING_LL_MinMax_u32_0_0_4v.uses_vcc, or(1, .L_ZN12_GLOBAL__N_17runRingIj10FuncMinMaxIjE7ProtoLLLi0ELi4ELi0EEEviiP15ncclDevWorkColl.uses_vcc)
	.set .L_Z50ncclDevFunc_ReduceScatter_RING_LL_MinMax_u32_0_0_4v.uses_flat_scratch, or(0, .L_ZN12_GLOBAL__N_17runRingIj10FuncMinMaxIjE7ProtoLLLi0ELi4ELi0EEEviiP15ncclDevWorkColl.uses_flat_scratch)
	.set .L_Z50ncclDevFunc_ReduceScatter_RING_LL_MinMax_u32_0_0_4v.has_dyn_sized_stack, or(0, .L_ZN12_GLOBAL__N_17runRingIj10FuncMinMaxIjE7ProtoLLLi0ELi4ELi0EEEviiP15ncclDevWorkColl.has_dyn_sized_stack)
	.set .L_Z50ncclDevFunc_ReduceScatter_RING_LL_MinMax_u32_0_0_4v.has_recursion, or(1, .L_ZN12_GLOBAL__N_17runRingIj10FuncMinMaxIjE7ProtoLLLi0ELi4ELi0EEEviiP15ncclDevWorkColl.has_recursion)
	.set .L_Z50ncclDevFunc_ReduceScatter_RING_LL_MinMax_u32_0_0_4v.has_indirect_call, or(0, .L_ZN12_GLOBAL__N_17runRingIj10FuncMinMaxIjE7ProtoLLLi0ELi4ELi0EEEviiP15ncclDevWorkColl.has_indirect_call)
	.section	.AMDGPU.csdata,"",@progbits
; Function info:
; codeLenInByte = 644
; TotalNumSgprs: 61
; NumVgprs: 120
; ScratchSize: 104
; MemoryBound: 0
	.text
	.p2alignl 6, 3214868480
	.fill 48, 4, 3214868480
	.section	.AMDGPU.gpr_maximums,"",@progbits
	.set amdgpu.max_num_vgpr, 120
	.set amdgpu.max_num_agpr, 0
	.set amdgpu.max_num_sgpr, 59
	.text
	.type	__hip_cuid_494e2d8729e6c80d,@object ; @__hip_cuid_494e2d8729e6c80d
	.section	.bss,"aw",@nobits
	.globl	__hip_cuid_494e2d8729e6c80d
__hip_cuid_494e2d8729e6c80d:
	.byte	0                               ; 0x0
	.size	__hip_cuid_494e2d8729e6c80d, 1

	.ident	"AMD clang version 22.0.0git (https://github.com/RadeonOpenCompute/llvm-project roc-7.2.4 26084 f58b06dce1f9c15707c5f808fd002e18c2accf7e)"
	.section	".note.GNU-stack","",@progbits
	.addrsig
	.addrsig_sym _Z50ncclDevFunc_ReduceScatter_RING_LL_MinMax_u32_0_0_1v
	.addrsig_sym _Z50ncclDevFunc_ReduceScatter_RING_LL_MinMax_u32_0_0_2v
	.addrsig_sym _Z50ncclDevFunc_ReduceScatter_RING_LL_MinMax_u32_0_0_4v
	.addrsig_sym ncclShmem
	.addrsig_sym __hip_cuid_494e2d8729e6c80d
	.amdgpu_metadata
---
amdhsa.kernels:  []
amdhsa.target:   amdgcn-amd-amdhsa--gfx1030
amdhsa.version:
  - 1
  - 2
...

	.end_amdgpu_metadata
